;; amdgpu-corpus repo=ROCm/rocFFT kind=compiled arch=gfx1201 opt=O3
	.text
	.amdgcn_target "amdgcn-amd-amdhsa--gfx1201"
	.amdhsa_code_object_version 6
	.protected	fft_rtc_fwd_len1170_factors_2_13_3_5_3_wgs_117_tpt_117_half_ip_CI_unitstride_sbrr_R2C_dirReg ; -- Begin function fft_rtc_fwd_len1170_factors_2_13_3_5_3_wgs_117_tpt_117_half_ip_CI_unitstride_sbrr_R2C_dirReg
	.globl	fft_rtc_fwd_len1170_factors_2_13_3_5_3_wgs_117_tpt_117_half_ip_CI_unitstride_sbrr_R2C_dirReg
	.p2align	8
	.type	fft_rtc_fwd_len1170_factors_2_13_3_5_3_wgs_117_tpt_117_half_ip_CI_unitstride_sbrr_R2C_dirReg,@function
fft_rtc_fwd_len1170_factors_2_13_3_5_3_wgs_117_tpt_117_half_ip_CI_unitstride_sbrr_R2C_dirReg: ; @fft_rtc_fwd_len1170_factors_2_13_3_5_3_wgs_117_tpt_117_half_ip_CI_unitstride_sbrr_R2C_dirReg
; %bb.0:
	s_clause 0x2
	s_load_b128 s[4:7], s[0:1], 0x0
	s_load_b64 s[8:9], s[0:1], 0x50
	s_load_b64 s[10:11], s[0:1], 0x18
	v_mul_u32_u24_e32 v1, 0x231, v0
	v_mov_b32_e32 v3, 0
	s_delay_alu instid0(VALU_DEP_2) | instskip(NEXT) | instid1(VALU_DEP_1)
	v_lshrrev_b32_e32 v1, 16, v1
	v_add_nc_u32_e32 v5, ttmp9, v1
	v_mov_b32_e32 v1, 0
	v_mov_b32_e32 v2, 0
	;; [unrolled: 1-line block ×3, first 2 shown]
	s_wait_kmcnt 0x0
	v_cmp_lt_u64_e64 s2, s[6:7], 2
	s_delay_alu instid0(VALU_DEP_1)
	s_and_b32 vcc_lo, exec_lo, s2
	s_cbranch_vccnz .LBB0_8
; %bb.1:
	s_load_b64 s[2:3], s[0:1], 0x10
	v_mov_b32_e32 v1, 0
	v_mov_b32_e32 v2, 0
	s_add_nc_u64 s[12:13], s[10:11], 8
	s_mov_b64 s[14:15], 1
	s_wait_kmcnt 0x0
	s_add_nc_u64 s[16:17], s[2:3], 8
	s_mov_b32 s3, 0
.LBB0_2:                                ; =>This Inner Loop Header: Depth=1
	s_load_b64 s[18:19], s[16:17], 0x0
                                        ; implicit-def: $vgpr9_vgpr10
	s_mov_b32 s2, exec_lo
	s_wait_kmcnt 0x0
	v_or_b32_e32 v4, s19, v6
	s_delay_alu instid0(VALU_DEP_1)
	v_cmpx_ne_u64_e32 0, v[3:4]
	s_wait_alu 0xfffe
	s_xor_b32 s20, exec_lo, s2
	s_cbranch_execz .LBB0_4
; %bb.3:                                ;   in Loop: Header=BB0_2 Depth=1
	s_cvt_f32_u32 s2, s18
	s_cvt_f32_u32 s21, s19
	s_sub_nc_u64 s[24:25], 0, s[18:19]
	s_wait_alu 0xfffe
	s_delay_alu instid0(SALU_CYCLE_1) | instskip(SKIP_1) | instid1(SALU_CYCLE_2)
	s_fmamk_f32 s2, s21, 0x4f800000, s2
	s_wait_alu 0xfffe
	v_s_rcp_f32 s2, s2
	s_delay_alu instid0(TRANS32_DEP_1) | instskip(SKIP_1) | instid1(SALU_CYCLE_2)
	s_mul_f32 s2, s2, 0x5f7ffffc
	s_wait_alu 0xfffe
	s_mul_f32 s21, s2, 0x2f800000
	s_wait_alu 0xfffe
	s_delay_alu instid0(SALU_CYCLE_2) | instskip(SKIP_1) | instid1(SALU_CYCLE_2)
	s_trunc_f32 s21, s21
	s_wait_alu 0xfffe
	s_fmamk_f32 s2, s21, 0xcf800000, s2
	s_cvt_u32_f32 s23, s21
	s_wait_alu 0xfffe
	s_delay_alu instid0(SALU_CYCLE_1) | instskip(SKIP_1) | instid1(SALU_CYCLE_2)
	s_cvt_u32_f32 s22, s2
	s_wait_alu 0xfffe
	s_mul_u64 s[26:27], s[24:25], s[22:23]
	s_wait_alu 0xfffe
	s_mul_hi_u32 s29, s22, s27
	s_mul_i32 s28, s22, s27
	s_mul_hi_u32 s2, s22, s26
	s_mul_i32 s30, s23, s26
	s_wait_alu 0xfffe
	s_add_nc_u64 s[28:29], s[2:3], s[28:29]
	s_mul_hi_u32 s21, s23, s26
	s_mul_hi_u32 s31, s23, s27
	s_add_co_u32 s2, s28, s30
	s_wait_alu 0xfffe
	s_add_co_ci_u32 s2, s29, s21
	s_mul_i32 s26, s23, s27
	s_add_co_ci_u32 s27, s31, 0
	s_wait_alu 0xfffe
	s_add_nc_u64 s[26:27], s[2:3], s[26:27]
	s_wait_alu 0xfffe
	v_add_co_u32 v4, s2, s22, s26
	s_delay_alu instid0(VALU_DEP_1) | instskip(SKIP_1) | instid1(VALU_DEP_1)
	s_cmp_lg_u32 s2, 0
	s_add_co_ci_u32 s23, s23, s27
	v_readfirstlane_b32 s22, v4
	s_wait_alu 0xfffe
	s_delay_alu instid0(VALU_DEP_1)
	s_mul_u64 s[24:25], s[24:25], s[22:23]
	s_wait_alu 0xfffe
	s_mul_hi_u32 s27, s22, s25
	s_mul_i32 s26, s22, s25
	s_mul_hi_u32 s2, s22, s24
	s_mul_i32 s28, s23, s24
	s_wait_alu 0xfffe
	s_add_nc_u64 s[26:27], s[2:3], s[26:27]
	s_mul_hi_u32 s21, s23, s24
	s_mul_hi_u32 s22, s23, s25
	s_wait_alu 0xfffe
	s_add_co_u32 s2, s26, s28
	s_add_co_ci_u32 s2, s27, s21
	s_mul_i32 s24, s23, s25
	s_add_co_ci_u32 s25, s22, 0
	s_wait_alu 0xfffe
	s_add_nc_u64 s[24:25], s[2:3], s[24:25]
	s_wait_alu 0xfffe
	v_add_co_u32 v4, s2, v4, s24
	s_delay_alu instid0(VALU_DEP_1) | instskip(SKIP_1) | instid1(VALU_DEP_1)
	s_cmp_lg_u32 s2, 0
	s_add_co_ci_u32 s2, s23, s25
	v_mul_hi_u32 v13, v5, v4
	s_wait_alu 0xfffe
	v_mad_co_u64_u32 v[7:8], null, v5, s2, 0
	v_mad_co_u64_u32 v[9:10], null, v6, v4, 0
	;; [unrolled: 1-line block ×3, first 2 shown]
	s_delay_alu instid0(VALU_DEP_3) | instskip(SKIP_1) | instid1(VALU_DEP_4)
	v_add_co_u32 v4, vcc_lo, v13, v7
	s_wait_alu 0xfffd
	v_add_co_ci_u32_e32 v7, vcc_lo, 0, v8, vcc_lo
	s_delay_alu instid0(VALU_DEP_2) | instskip(SKIP_1) | instid1(VALU_DEP_2)
	v_add_co_u32 v4, vcc_lo, v4, v9
	s_wait_alu 0xfffd
	v_add_co_ci_u32_e32 v4, vcc_lo, v7, v10, vcc_lo
	s_wait_alu 0xfffd
	v_add_co_ci_u32_e32 v7, vcc_lo, 0, v12, vcc_lo
	s_delay_alu instid0(VALU_DEP_2) | instskip(SKIP_1) | instid1(VALU_DEP_2)
	v_add_co_u32 v4, vcc_lo, v4, v11
	s_wait_alu 0xfffd
	v_add_co_ci_u32_e32 v9, vcc_lo, 0, v7, vcc_lo
	s_delay_alu instid0(VALU_DEP_2) | instskip(SKIP_1) | instid1(VALU_DEP_3)
	v_mul_lo_u32 v10, s19, v4
	v_mad_co_u64_u32 v[7:8], null, s18, v4, 0
	v_mul_lo_u32 v11, s18, v9
	s_delay_alu instid0(VALU_DEP_2) | instskip(NEXT) | instid1(VALU_DEP_2)
	v_sub_co_u32 v7, vcc_lo, v5, v7
	v_add3_u32 v8, v8, v11, v10
	s_delay_alu instid0(VALU_DEP_1) | instskip(SKIP_1) | instid1(VALU_DEP_1)
	v_sub_nc_u32_e32 v10, v6, v8
	s_wait_alu 0xfffd
	v_subrev_co_ci_u32_e64 v10, s2, s19, v10, vcc_lo
	v_add_co_u32 v11, s2, v4, 2
	s_wait_alu 0xf1ff
	v_add_co_ci_u32_e64 v12, s2, 0, v9, s2
	v_sub_co_u32 v13, s2, v7, s18
	v_sub_co_ci_u32_e32 v8, vcc_lo, v6, v8, vcc_lo
	s_wait_alu 0xf1ff
	v_subrev_co_ci_u32_e64 v10, s2, 0, v10, s2
	s_delay_alu instid0(VALU_DEP_3) | instskip(NEXT) | instid1(VALU_DEP_3)
	v_cmp_le_u32_e32 vcc_lo, s18, v13
	v_cmp_eq_u32_e64 s2, s19, v8
	s_wait_alu 0xfffd
	v_cndmask_b32_e64 v13, 0, -1, vcc_lo
	v_cmp_le_u32_e32 vcc_lo, s19, v10
	s_wait_alu 0xfffd
	v_cndmask_b32_e64 v14, 0, -1, vcc_lo
	v_cmp_le_u32_e32 vcc_lo, s18, v7
	;; [unrolled: 3-line block ×3, first 2 shown]
	s_wait_alu 0xfffd
	v_cndmask_b32_e64 v15, 0, -1, vcc_lo
	v_cmp_eq_u32_e32 vcc_lo, s19, v10
	s_wait_alu 0xf1ff
	s_delay_alu instid0(VALU_DEP_2)
	v_cndmask_b32_e64 v7, v15, v7, s2
	s_wait_alu 0xfffd
	v_cndmask_b32_e32 v10, v14, v13, vcc_lo
	v_add_co_u32 v13, vcc_lo, v4, 1
	s_wait_alu 0xfffd
	v_add_co_ci_u32_e32 v14, vcc_lo, 0, v9, vcc_lo
	s_delay_alu instid0(VALU_DEP_3) | instskip(SKIP_1) | instid1(VALU_DEP_2)
	v_cmp_ne_u32_e32 vcc_lo, 0, v10
	s_wait_alu 0xfffd
	v_dual_cndmask_b32 v11, v13, v11 :: v_dual_cndmask_b32 v8, v14, v12
	v_cmp_ne_u32_e32 vcc_lo, 0, v7
	s_wait_alu 0xfffd
	s_delay_alu instid0(VALU_DEP_2)
	v_dual_cndmask_b32 v10, v9, v8 :: v_dual_cndmask_b32 v9, v4, v11
.LBB0_4:                                ;   in Loop: Header=BB0_2 Depth=1
	s_wait_alu 0xfffe
	s_and_not1_saveexec_b32 s2, s20
	s_cbranch_execz .LBB0_6
; %bb.5:                                ;   in Loop: Header=BB0_2 Depth=1
	v_cvt_f32_u32_e32 v4, s18
	s_sub_co_i32 s20, 0, s18
	v_mov_b32_e32 v10, v3
	s_delay_alu instid0(VALU_DEP_2) | instskip(NEXT) | instid1(TRANS32_DEP_1)
	v_rcp_iflag_f32_e32 v4, v4
	v_mul_f32_e32 v4, 0x4f7ffffe, v4
	s_delay_alu instid0(VALU_DEP_1) | instskip(SKIP_1) | instid1(VALU_DEP_1)
	v_cvt_u32_f32_e32 v4, v4
	s_wait_alu 0xfffe
	v_mul_lo_u32 v7, s20, v4
	s_delay_alu instid0(VALU_DEP_1) | instskip(NEXT) | instid1(VALU_DEP_1)
	v_mul_hi_u32 v7, v4, v7
	v_add_nc_u32_e32 v4, v4, v7
	s_delay_alu instid0(VALU_DEP_1) | instskip(NEXT) | instid1(VALU_DEP_1)
	v_mul_hi_u32 v4, v5, v4
	v_mul_lo_u32 v7, v4, s18
	v_add_nc_u32_e32 v8, 1, v4
	s_delay_alu instid0(VALU_DEP_2) | instskip(NEXT) | instid1(VALU_DEP_1)
	v_sub_nc_u32_e32 v7, v5, v7
	v_subrev_nc_u32_e32 v9, s18, v7
	v_cmp_le_u32_e32 vcc_lo, s18, v7
	s_wait_alu 0xfffd
	s_delay_alu instid0(VALU_DEP_2) | instskip(NEXT) | instid1(VALU_DEP_1)
	v_dual_cndmask_b32 v7, v7, v9 :: v_dual_cndmask_b32 v4, v4, v8
	v_cmp_le_u32_e32 vcc_lo, s18, v7
	s_delay_alu instid0(VALU_DEP_2) | instskip(SKIP_1) | instid1(VALU_DEP_1)
	v_add_nc_u32_e32 v8, 1, v4
	s_wait_alu 0xfffd
	v_cndmask_b32_e32 v9, v4, v8, vcc_lo
.LBB0_6:                                ;   in Loop: Header=BB0_2 Depth=1
	s_wait_alu 0xfffe
	s_or_b32 exec_lo, exec_lo, s2
	s_load_b64 s[20:21], s[12:13], 0x0
	v_mul_lo_u32 v4, v10, s18
	v_mul_lo_u32 v11, v9, s19
	v_mad_co_u64_u32 v[7:8], null, v9, s18, 0
	s_add_nc_u64 s[14:15], s[14:15], 1
	s_add_nc_u64 s[12:13], s[12:13], 8
	s_wait_alu 0xfffe
	v_cmp_ge_u64_e64 s2, s[14:15], s[6:7]
	s_add_nc_u64 s[16:17], s[16:17], 8
	s_delay_alu instid0(VALU_DEP_2) | instskip(NEXT) | instid1(VALU_DEP_3)
	v_add3_u32 v4, v8, v11, v4
	v_sub_co_u32 v5, vcc_lo, v5, v7
	s_wait_alu 0xfffd
	s_delay_alu instid0(VALU_DEP_2) | instskip(SKIP_3) | instid1(VALU_DEP_2)
	v_sub_co_ci_u32_e32 v4, vcc_lo, v6, v4, vcc_lo
	s_and_b32 vcc_lo, exec_lo, s2
	s_wait_kmcnt 0x0
	v_mul_lo_u32 v6, s21, v5
	v_mul_lo_u32 v4, s20, v4
	v_mad_co_u64_u32 v[1:2], null, s20, v5, v[1:2]
	s_delay_alu instid0(VALU_DEP_1)
	v_add3_u32 v2, v6, v2, v4
	s_wait_alu 0xfffe
	s_cbranch_vccnz .LBB0_9
; %bb.7:                                ;   in Loop: Header=BB0_2 Depth=1
	v_dual_mov_b32 v5, v9 :: v_dual_mov_b32 v6, v10
	s_branch .LBB0_2
.LBB0_8:
	v_dual_mov_b32 v10, v6 :: v_dual_mov_b32 v9, v5
.LBB0_9:
	s_lshl_b64 s[2:3], s[6:7], 3
	v_mul_hi_u32 v3, 0x2302303, v0
	s_wait_alu 0xfffe
	s_add_nc_u64 s[2:3], s[10:11], s[2:3]
	s_load_b64 s[0:1], s[0:1], 0x20
	s_load_b64 s[2:3], s[2:3], 0x0
	s_delay_alu instid0(VALU_DEP_1) | instskip(NEXT) | instid1(VALU_DEP_1)
	v_mul_u32_u24_e32 v3, 0x75, v3
	v_sub_nc_u32_e32 v0, v0, v3
	s_delay_alu instid0(VALU_DEP_1)
	v_add_nc_u32_e32 v8, 0xea, v0
	v_add_nc_u32_e32 v7, 0x15f, v0
	s_wait_kmcnt 0x0
	v_cmp_gt_u64_e32 vcc_lo, s[0:1], v[9:10]
	v_mul_lo_u32 v5, s2, v10
	v_mul_lo_u32 v6, s3, v9
	v_mad_co_u64_u32 v[3:4], null, s2, v9, v[1:2]
	v_cmp_le_u64_e64 s0, s[0:1], v[9:10]
	v_add_nc_u32_e32 v2, 0x75, v0
	s_delay_alu instid0(VALU_DEP_3) | instskip(SKIP_1) | instid1(VALU_DEP_4)
	v_add3_u32 v4, v6, v4, v5
	v_add_nc_u32_e32 v6, 0x1d4, v0
	s_and_saveexec_b32 s1, s0
	s_wait_alu 0xfffe
	s_xor_b32 s0, exec_lo, s1
; %bb.10:
	v_add_nc_u32_e32 v2, 0x75, v0
	v_add_nc_u32_e32 v8, 0xea, v0
	;; [unrolled: 1-line block ×4, first 2 shown]
; %bb.11:
	s_wait_alu 0xfffe
	s_or_saveexec_b32 s1, s0
	v_lshlrev_b64_e32 v[4:5], 2, v[3:4]
	s_wait_alu 0xfffe
	s_xor_b32 exec_lo, exec_lo, s1
	s_cbranch_execz .LBB0_13
; %bb.12:
	v_mov_b32_e32 v1, 0
	s_delay_alu instid0(VALU_DEP_1) | instskip(SKIP_3) | instid1(VALU_DEP_2)
	v_lshlrev_b64_e32 v[9:10], 2, v[0:1]
	v_add_co_u32 v1, s0, s8, v4
	s_wait_alu 0xf1ff
	v_add_co_ci_u32_e64 v3, s0, s9, v5, s0
	v_add_co_u32 v9, s0, v1, v9
	s_wait_alu 0xf1ff
	s_delay_alu instid0(VALU_DEP_2)
	v_add_co_ci_u32_e64 v10, s0, v3, v10, s0
	s_clause 0x9
	global_load_b32 v1, v[9:10], off
	global_load_b32 v3, v[9:10], off offset:468
	global_load_b32 v11, v[9:10], off offset:936
	;; [unrolled: 1-line block ×9, first 2 shown]
	v_lshl_add_u32 v10, v0, 2, 0
	s_delay_alu instid0(VALU_DEP_1)
	v_add_nc_u32_e32 v18, 0x200, v10
	v_add_nc_u32_e32 v19, 0x600, v10
	;; [unrolled: 1-line block ×4, first 2 shown]
	s_wait_loadcnt 0x8
	ds_store_2addr_b32 v10, v1, v3 offset1:117
	s_wait_loadcnt 0x6
	ds_store_2addr_b32 v18, v11, v12 offset0:106 offset1:223
	s_wait_loadcnt 0x4
	ds_store_2addr_b32 v19, v13, v14 offset0:84 offset1:201
	;; [unrolled: 2-line block ×4, first 2 shown]
.LBB0_13:
	s_or_b32 exec_lo, exec_lo, s1
	v_lshlrev_b32_e32 v1, 2, v0
	global_wb scope:SCOPE_SE
	s_wait_dscnt 0x0
	s_barrier_signal -1
	s_barrier_wait -1
	global_inv scope:SCOPE_SE
	v_add_nc_u32_e32 v21, 0, v1
	v_lshl_add_u32 v20, v2, 3, 0
	v_lshl_add_u32 v26, v8, 3, 0
	;; [unrolled: 1-line block ×3, first 2 shown]
	v_cmp_gt_u32_e64 s0, 0x5a, v0
	v_add_nc_u32_e32 v9, 0x600, v21
	v_add_nc_u32_e32 v10, 0xe00, v21
	;; [unrolled: 1-line block ×4, first 2 shown]
	ds_load_2addr_b32 v[22:23], v21 offset1:117
	ds_load_2addr_b32 v[11:12], v9 offset0:84 offset1:201
	ds_load_2addr_b32 v[13:14], v10 offset0:40 offset1:157
	;; [unrolled: 1-line block ×4, first 2 shown]
	v_add_nc_u32_e32 v29, v21, v1
	v_lshl_add_u32 v28, v6, 3, 0
	global_wb scope:SCOPE_SE
	s_wait_dscnt 0x0
	s_barrier_signal -1
	s_barrier_wait -1
	global_inv scope:SCOPE_SE
                                        ; implicit-def: $vgpr41
                                        ; implicit-def: $vgpr37
                                        ; implicit-def: $vgpr45
                                        ; implicit-def: $vgpr48
	v_pk_add_f16 v10, v22, v12 neg_lo:[0,1] neg_hi:[0,1]
	v_pk_add_f16 v12, v11, v14 neg_lo:[0,1] neg_hi:[0,1]
	;; [unrolled: 1-line block ×5, first 2 shown]
	v_pk_fma_f16 v9, v22, 2.0, v10 op_sel_hi:[1,0,1] neg_lo:[0,0,1] neg_hi:[0,0,1]
	v_pk_fma_f16 v11, v11, 2.0, v12 op_sel_hi:[1,0,1] neg_lo:[0,0,1] neg_hi:[0,0,1]
	;; [unrolled: 1-line block ×5, first 2 shown]
	v_lshrrev_b32_e32 v35, 16, v10
	v_lshrrev_b32_e32 v38, 16, v18
	;; [unrolled: 1-line block ×8, first 2 shown]
	ds_store_2addr_b32 v29, v9, v10 offset1:1
	ds_store_2addr_b32 v20, v17, v18 offset1:1
	;; [unrolled: 1-line block ×5, first 2 shown]
	global_wb scope:SCOPE_SE
	s_wait_dscnt 0x0
	s_barrier_signal -1
	s_barrier_wait -1
	global_inv scope:SCOPE_SE
                                        ; implicit-def: $vgpr20
	s_and_saveexec_b32 s1, s0
	s_cbranch_execz .LBB0_15
; %bb.14:
	v_add_nc_u32_e32 v13, 0xc00, v21
	v_add_nc_u32_e32 v14, 0x400, v21
	ds_load_2addr_b32 v[9:10], v21 offset1:90
	ds_load_2addr_b32 v[11:12], v19 offset0:80 offset1:170
	ds_load_2addr_b32 v[17:18], v3 offset0:52 offset1:142
	v_add_nc_u32_e32 v3, 0x800, v21
	ds_load_b32 v37, v21 offset:4320
	ds_load_2addr_b32 v[19:20], v13 offset0:132 offset1:222
	ds_load_2addr_b32 v[15:16], v14 offset0:104 offset1:194
	;; [unrolled: 1-line block ×3, first 2 shown]
	s_wait_dscnt 0x6
	v_lshrrev_b32_e32 v35, 16, v10
	s_wait_dscnt 0x5
	v_lshrrev_b32_e32 v36, 16, v12
	;; [unrolled: 2-line block ×3, first 2 shown]
	v_lshrrev_b32_e32 v38, 16, v18
	s_wait_dscnt 0x3
	v_lshrrev_b32_e32 v41, 16, v37
	s_wait_dscnt 0x2
	v_lshrrev_b32_e32 v48, 16, v19
	v_lshrrev_b32_e32 v45, 16, v20
	s_wait_dscnt 0x1
	v_lshrrev_b32_e32 v42, 16, v15
	v_lshrrev_b32_e32 v39, 16, v16
	s_wait_dscnt 0x0
	v_lshrrev_b32_e32 v49, 16, v13
	v_lshrrev_b32_e32 v44, 16, v14
.LBB0_15:
	s_wait_alu 0xfffe
	s_or_b32 exec_lo, exec_lo, s1
	v_and_b32_e32 v3, 1, v0
	v_lshrrev_b32_e32 v63, 16, v11
	s_delay_alu instid0(VALU_DEP_2) | instskip(NEXT) | instid1(VALU_DEP_1)
	v_mul_u32_u24_e32 v22, 12, v3
	v_lshlrev_b32_e32 v22, 2, v22
	s_clause 0x2
	global_load_b128 v[51:54], v22, s[4:5]
	global_load_b128 v[55:58], v22, s[4:5] offset:16
	global_load_b128 v[59:62], v22, s[4:5] offset:32
	v_lshrrev_b32_e32 v22, 16, v9
	global_wb scope:SCOPE_SE
	s_wait_loadcnt 0x0
	s_barrier_signal -1
	s_barrier_wait -1
	global_inv scope:SCOPE_SE
	v_lshrrev_b32_e32 v23, 16, v51
	v_lshrrev_b32_e32 v24, 16, v52
	;; [unrolled: 1-line block ×8, first 2 shown]
	v_mul_f16_e32 v66, v35, v23
	v_mul_f16_e32 v34, v10, v23
	;; [unrolled: 1-line block ×8, first 2 shown]
	v_lshrrev_b32_e32 v26, 16, v54
	v_lshrrev_b32_e32 v28, 16, v56
	;; [unrolled: 1-line block ×4, first 2 shown]
	v_mul_f16_e32 v68, v38, v25
	v_mul_f16_e32 v32, v18, v25
	;; [unrolled: 1-line block ×8, first 2 shown]
	v_fma_f16 v50, v10, v51, -v66
	v_fmac_f16_e32 v34, v35, v51
	v_fma_f16 v10, v37, v62, -v64
	v_fmac_f16_e32 v23, v41, v62
	v_mul_f16_e32 v69, v42, v26
	v_mul_f16_e32 v31, v15, v26
	;; [unrolled: 1-line block ×6, first 2 shown]
	v_fma_f16 v47, v17, v52, -v67
	v_fmac_f16_e32 v33, v40, v52
	v_fma_f16 v46, v18, v53, -v68
	v_fmac_f16_e32 v32, v38, v53
	;; [unrolled: 2-line block ×4, first 2 shown]
	v_sub_f16_e32 v58, v50, v10
	v_sub_f16_e32 v53, v34, v23
	v_mul_f16_e32 v29, v13, v28
	v_mul_f16_e32 v28, v14, v43
	v_fma_f16 v43, v15, v54, -v69
	v_fmac_f16_e32 v31, v42, v54
	v_fmac_f16_e32 v30, v39, v55
	v_fma_f16 v40, v13, v56, -v71
	v_fma_f16 v39, v14, v57, -v72
	;; [unrolled: 1-line block ×3, first 2 shown]
	v_fmac_f16_e32 v26, v36, v59
	v_fma_f16 v13, v19, v60, -v75
	v_fmac_f16_e32 v25, v48, v60
	v_add_f16_e32 v12, v50, v10
	v_add_f16_e32 v37, v34, v23
	v_sub_f16_e32 v59, v47, v11
	v_sub_f16_e32 v54, v33, v24
	v_mul_f16_e32 v72, 0xba95, v53
	v_mul_f16_e32 v76, 0xba95, v58
	;; [unrolled: 1-line block ×6, first 2 shown]
	v_fma_f16 v42, v16, v55, -v70
	v_add_f16_e32 v14, v47, v11
	v_add_f16_e32 v36, v33, v24
	v_sub_f16_e32 v62, v46, v13
	v_sub_f16_e32 v55, v32, v25
	v_mul_f16_e32 v73, 0xbb7b, v54
	v_mul_f16_e32 v77, 0xbb7b, v59
	;; [unrolled: 1-line block ×6, first 2 shown]
	v_fmamk_f16 v15, v12, 0x388b, v72
	v_fma_f16 v16, v37, 0x388b, -v76
	v_fmamk_f16 v17, v12, 0x2fb7, v88
	v_fma_f16 v18, v37, 0x2fb7, -v91
	;; [unrolled: 2-line block ×3, first 2 shown]
	v_fmac_f16_e32 v29, v49, v56
	v_fmac_f16_e32 v28, v44, v57
	v_add_f16_e32 v41, v46, v13
	v_add_f16_e32 v44, v32, v25
	v_sub_f16_e32 v64, v43, v35
	v_sub_f16_e32 v56, v31, v26
	v_mul_f16_e32 v69, 0xb3a8, v55
	v_mul_f16_e32 v74, 0xb3a8, v62
	v_mul_f16_e32 v81, 0x3b7b, v55
	v_mul_f16_e32 v87, 0x3b7b, v62
	v_mul_f16_e32 v95, 0x3770, v55
	v_mul_f16_e32 v101, 0x3770, v62
	v_fmamk_f16 v20, v14, 0xb5ac, v73
	v_fma_f16 v94, v36, 0xb5ac, -v77
	v_fmamk_f16 v104, v14, 0xbbc4, v84
	v_fma_f16 v105, v36, 0xbbc4, -v90
	v_fmamk_f16 v106, v14, 0xb9fd, v96
	v_fma_f16 v107, v36, 0xb9fd, -v102
	v_add_f16_e32 v15, v9, v15
	v_add_f16_e32 v16, v22, v16
	v_add_f16_e32 v17, v9, v17
	v_add_f16_e32 v18, v22, v18
	v_add_f16_e32 v19, v9, v19
	v_add_f16_e32 v89, v22, v89
	v_add_f16_e32 v45, v43, v35
	v_add_f16_e32 v48, v31, v26
	v_sub_f16_e32 v61, v42, v38
	v_sub_f16_e32 v57, v30, v27
	v_mul_f16_e32 v68, 0x394e, v56
	v_mul_f16_e32 v75, 0x394e, v64
	v_mul_f16_e32 v79, 0x3770, v56
	v_mul_f16_e32 v85, 0x3770, v64
	v_mul_f16_e32 v93, 0xbbf1, v56
	v_mul_f16_e32 v100, 0xbbf1, v64
	v_fmamk_f16 v108, v41, 0xbbc4, v69
	v_fma_f16 v109, v44, 0xbbc4, -v74
	v_fmamk_f16 v110, v41, 0xb5ac, v81
	v_fma_f16 v111, v44, 0xb5ac, -v87
	v_fmamk_f16 v112, v41, 0x3b15, v95
	v_fma_f16 v113, v44, 0x3b15, -v101
	v_add_f16_e32 v15, v20, v15
	v_add_f16_e32 v16, v94, v16
	v_add_f16_e32 v17, v104, v17
	v_add_f16_e32 v18, v105, v18
	v_add_f16_e32 v19, v106, v19
	v_add_f16_e32 v20, v107, v89
	;; [unrolled: 22-line block ×3, first 2 shown]
	v_add_f16_e32 v52, v40, v39
	v_add_f16_e32 v63, v29, v28
	v_mul_f16_e32 v66, 0x3770, v60
	v_mul_f16_e32 v70, 0x3770, v65
	v_mul_f16_e32 v78, 0xb94e, v60
	v_mul_f16_e32 v82, 0xb94e, v65
	v_mul_f16_e32 v86, 0x3a95, v60
	v_mul_f16_e32 v99, 0x3a95, v65
	v_fmamk_f16 v120, v49, 0x2fb7, v67
	v_fma_f16 v121, v51, 0x2fb7, -v71
	v_fmamk_f16 v122, v49, 0x388b, v80
	v_fma_f16 v123, v51, 0x388b, -v83
	;; [unrolled: 2-line block ×3, first 2 shown]
	v_add_f16_e32 v15, v114, v15
	v_add_f16_e32 v16, v115, v16
	;; [unrolled: 1-line block ×6, first 2 shown]
	v_fmamk_f16 v126, v52, 0x3b15, v66
	v_fma_f16 v127, v63, 0x3b15, -v70
	v_fma_f16 v128, 0xb9fd, v52, v78
	v_fma_f16 v129, v63, 0xb9fd, -v82
	v_fma_f16 v130, 0x388b, v52, v86
	v_fma_f16 v131, v63, 0x388b, -v99
	v_add_f16_e32 v15, v120, v15
	v_add_f16_e32 v16, v121, v16
	;; [unrolled: 1-line block ×8, first 2 shown]
	v_add_f16_e64 v19, v128, v89
	v_add_f16_e64 v20, v129, v94
	;; [unrolled: 1-line block ×4, first 2 shown]
	s_and_saveexec_b32 s1, s0
	s_cbranch_execz .LBB0_17
; %bb.16:
	v_mul_f16_e32 v104, 0xb9fd, v37
	v_mul_f16_e32 v105, 0x2fb7, v36
	;; [unrolled: 1-line block ×5, first 2 shown]
	v_fmamk_f16 v89, v58, 0x394e, v104
	v_fmamk_f16 v94, v59, 0xbbf1, v105
	;; [unrolled: 1-line block ×3, first 2 shown]
	v_mul_f16_e32 v107, 0xbbc4, v48
	v_mul_f16_e32 v113, 0xba95, v55
	v_add_f16_e32 v89, v22, v89
	v_fmamk_f16 v114, v62, 0x3a95, v106
	v_fmamk_f16 v115, v14, 0x2fb7, v111
	v_mul_f16_e32 v108, 0x3b15, v51
	v_fmamk_f16 v116, v64, 0xb3a8, v107
	v_add_f16_e32 v89, v94, v89
	v_add_f16_e32 v94, v9, v112
	v_mul_f16_e32 v112, 0x33a8, v56
	v_fmamk_f16 v117, v41, 0x388b, v113
	v_mul_f16_e32 v110, 0xb5ac, v63
	v_add_f16_e32 v89, v114, v89
	v_add_f16_e32 v94, v115, v94
	v_mul_f16_e32 v115, 0xbbc4, v37
	v_mul_f16_e32 v114, 0x3770, v57
	v_fmamk_f16 v118, v61, 0xb770, v108
	v_fmamk_f16 v119, v45, 0xbbc4, v112
	v_add_f16_e32 v89, v116, v89
	v_add_f16_e32 v94, v117, v94
	v_fmamk_f16 v116, v58, 0x33a8, v115
	v_mul_f16_e32 v117, 0x3b15, v36
	v_fmamk_f16 v120, v65, 0x3b7b, v110
	v_fmamk_f16 v121, v49, 0x3b15, v114
	v_add_f16_e32 v89, v118, v89
	v_add_f16_e32 v116, v22, v116
	v_fmamk_f16 v118, v59, 0xb770, v117
	v_mul_f16_e32 v122, 0xb9fd, v44
	v_add_f16_e32 v94, v119, v94
	v_mul_f16_e32 v119, 0xbb7b, v60
	v_add_f16_e32 v89, v120, v89
	v_add_f16_e32 v116, v118, v116
	v_fmamk_f16 v118, v62, 0x394e, v122
	v_mul_f16_e32 v120, 0x388b, v48
	v_add_f16_e32 v94, v121, v94
	v_fmamk_f16 v121, v52, 0xb5ac, v119
	v_mul_f16_e32 v123, 0xb3a8, v53
	;; [unrolled: 3-line block ×5, first 2 shown]
	v_add_f16_e32 v121, v9, v121
	v_fmamk_f16 v127, v14, 0x3b15, v125
	v_mul_f16_e64 v128, 0xb94e, v55
	v_fmac_f16_e32 v104, 0xb94e, v58
	v_fma_f16 v109, v12, 0xb9fd, -v109
	v_add_f16_e32 v116, v118, v116
	v_fmac_f16_e32 v115, 0xb3a8, v58
	v_fmamk_f16 v118, v65, 0xbbf1, v126
	v_add_f16_e32 v121, v127, v121
	v_fma_f16 v127, 0xb9fd, v41, v128
	v_add_f16_e32 v104, v22, v104
	v_fmac_f16_e32 v105, 0x3bf1, v59
	v_add_f16_e32 v109, v9, v109
	v_fma_f16 v111, v14, 0x2fb7, -v111
	v_mul_f16_e64 v129, 0x3a95, v56
	v_add_f16_e32 v115, v22, v115
	v_fmac_f16_e32 v117, 0x3770, v59
	v_add_f16_e32 v116, v118, v116
	v_add_f16_e32 v118, v127, v121
	v_fma_f16 v121, v12, 0xbbc4, -v123
	v_add_f16_e32 v104, v105, v104
	v_fmac_f16_e32 v106, 0xba95, v62
	v_add_f16_e32 v109, v111, v109
	v_fma_f16 v111, v41, 0x388b, -v113
	v_fma_f16 v123, 0x388b, v45, v129
	v_add_f16_e32 v115, v117, v115
	v_fmac_f16_e32 v122, 0xb94e, v62
	v_add_f16_e32 v121, v9, v121
	v_fma_f16 v125, v14, 0x3b15, -v125
	v_add_f16_e32 v104, v106, v104
	v_fmac_f16_e32 v107, 0x33a8, v64
	v_add_f16_e32 v109, v111, v109
	v_fma_f16 v112, v45, 0xbbc4, -v112
	v_add_f16_e32 v118, v123, v118
	v_add_f16_e32 v115, v122, v115
	v_fmac_f16_e32 v120, 0x3a95, v64
	v_add_f16_e32 v121, v125, v121
	v_fma_f16 v123, v41, 0xb9fd, -v128
	v_add_f16_e32 v104, v107, v104
	v_mul_f16_e32 v107, 0xb5ac, v37
	v_add_f16_e32 v109, v112, v109
	v_fma_f16 v112, v49, 0x3b15, -v114
	v_add_f16_e32 v50, v9, v50
	v_mul_f16_e32 v117, 0xbb7b, v57
	v_add_f16_e32 v115, v120, v115
	v_add_f16_e32 v120, v123, v121
	v_fma_f16 v121, v45, 0x388b, -v129
	v_mul_f16_e32 v105, 0x388b, v37
	v_fmac_f16_e32 v108, 0x3770, v61
	v_add_f16_e32 v103, v103, v107
	v_mul_f16_e32 v107, 0xb9fd, v36
	v_add_f16_e32 v109, v112, v109
	v_fma_f16 v119, v52, 0xb5ac, -v119
	v_add_f16_e32 v47, v50, v47
	v_fmamk_f16 v122, v49, 0xb5ac, v117
	v_add_f16_e32 v120, v121, v120
	v_fma_f16 v117, v49, 0xb5ac, -v117
	v_mul_f16_e32 v113, 0xb5ac, v12
	v_add_f16_e32 v104, v108, v104
	v_mul_f16_e32 v108, 0xb5ac, v36
	v_add_f16_e32 v103, v22, v103
	v_add_f16_e32 v102, v102, v107
	v_fmac_f16_e32 v110, 0xbb7b, v65
	v_add_f16_e32 v109, v119, v109
	v_mul_f16_e32 v119, 0x2fb7, v48
	v_add_f16_e32 v76, v76, v105
	v_mul_f16_e32 v53, 0xb770, v53
	v_add_f16_e32 v46, v47, v46
	v_add_f16_e32 v34, v22, v34
	;; [unrolled: 1-line block ×3, first 2 shown]
	v_mul_f16_e32 v120, 0x388b, v12
	v_mul_f16_e32 v112, 0x3b15, v44
	v_add_f16_e32 v102, v102, v103
	v_mul_f16_e32 v103, 0xb9fd, v14
	v_add_f16_e32 v104, v110, v104
	v_mul_f16_e32 v110, 0xbbc4, v44
	v_sub_f16_e32 v97, v113, v97
	v_add_f16_e32 v100, v100, v119
	v_mul_f16_e32 v119, 0xbbc4, v51
	v_add_f16_e32 v76, v22, v76
	v_add_f16_e32 v77, v77, v108
	v_fma_f16 v50, v12, 0x3b15, -v53
	v_mul_f16_e32 v54, 0xba95, v54
	v_add_f16_e32 v43, v46, v43
	v_add_f16_e32 v33, v34, v33
	v_mul_f16_e32 v111, 0xb5ac, v14
	v_add_f16_e32 v101, v101, v112
	v_sub_f16_e32 v96, v103, v96
	v_add_f16_e32 v97, v9, v97
	v_add_f16_e32 v98, v98, v119
	v_mul_f16_e32 v119, 0xb9fd, v48
	v_sub_f16_e32 v72, v120, v72
	v_add_f16_e32 v76, v77, v76
	v_add_f16_e32 v74, v74, v110
	;; [unrolled: 1-line block ×3, first 2 shown]
	v_fma_f16 v50, v14, 0x388b, -v54
	v_mul_f16_e32 v55, 0xbbf1, v55
	v_add_f16_e32 v42, v43, v42
	v_add_f16_e32 v32, v33, v32
	v_mul_f16_e32 v125, 0x3bf1, v60
	v_mul_f16_e32 v106, 0x2fb7, v37
	;; [unrolled: 1-line block ×3, first 2 shown]
	v_add_f16_e32 v101, v101, v102
	v_mul_f16_e32 v103, 0x3b15, v41
	v_add_f16_e32 v96, v96, v97
	v_mul_f16_e32 v97, 0x388b, v63
	v_add_f16_e32 v72, v9, v72
	v_sub_f16_e32 v73, v111, v73
	v_add_f16_e32 v74, v74, v76
	v_add_f16_e32 v75, v75, v119
	v_mul_f16_e32 v58, 0xb770, v58
	v_add_f16_e32 v34, v50, v47
	v_fma_f16 v47, v41, 0x2fb7, -v55
	v_mul_f16_e32 v43, 0xbb7b, v56
	v_add_f16_e32 v40, v42, v40
	v_add_f16_e32 v31, v32, v31
	v_fma_f16 v121, v52, 0x2fb7, -v125
	v_add_f16_e32 v100, v100, v101
	v_mul_f16_e32 v101, 0xb9fd, v45
	v_sub_f16_e32 v95, v103, v95
	v_add_f16_e32 v97, v99, v97
	v_mul_f16_e32 v99, 0x2fb7, v45
	v_add_f16_e32 v91, v91, v106
	v_mul_f16_e32 v106, 0x2fb7, v51
	v_add_f16_e32 v72, v73, v72
	v_sub_f16_e32 v69, v112, v69
	v_add_f16_e32 v74, v75, v74
	v_fmamk_f16 v75, v37, 0x3b15, v58
	v_mul_f16_e32 v59, 0xba95, v59
	v_add_f16_e32 v34, v47, v34
	v_fma_f16 v42, v45, 0xb5ac, -v43
	v_mul_f16_e32 v32, 0xb94e, v57
	v_add_f16_e32 v39, v40, v39
	v_add_f16_e32 v30, v31, v30
	;; [unrolled: 1-line block ×3, first 2 shown]
	v_mul_f16_e32 v121, 0x2fb7, v12
	v_add_f16_e32 v95, v95, v96
	v_mul_f16_e32 v96, 0x2fb7, v49
	v_sub_f16_e32 v93, v99, v93
	v_mul_f16_e32 v99, 0xbbc4, v49
	v_add_f16_e32 v69, v69, v72
	v_sub_f16_e32 v68, v101, v68
	v_add_f16_e32 v71, v71, v106
	v_add_f16_e32 v72, v22, v75
	v_fmamk_f16 v75, v36, 0x388b, v59
	v_mul_f16_e32 v62, 0xbbf1, v62
	v_add_f16_e32 v34, v42, v34
	v_fma_f16 v31, v49, 0xb9fd, -v32
	v_add_f16_e32 v38, v39, v38
	v_add_f16_e32 v29, v30, v29
	v_mul_f16_e32 v114, 0xbbc4, v14
	v_mul_f16_e32 v107, 0xbbc4, v36
	v_sub_f16_e32 v88, v121, v88
	v_sub_f16_e32 v92, v99, v92
	v_mul_f16_e32 v99, 0x3b15, v52
	v_add_f16_e32 v68, v68, v69
	v_sub_f16_e32 v67, v96, v67
	v_add_f16_e32 v69, v71, v74
	v_add_f16_e32 v71, v75, v72
	v_fmamk_f16 v72, v44, 0x2fb7, v62
	v_mul_f16_e32 v64, 0xbb7b, v64
	v_add_f16_e32 v30, v31, v34
	v_add_f16_e32 v34, v38, v35
	;; [unrolled: 1-line block ×3, first 2 shown]
	v_fma_f16 v29, v37, 0x3b15, -v58
	v_mul_f16_e32 v102, 0xb5ac, v41
	v_mul_f16_e32 v113, 0xb5ac, v44
	v_add_f16_e32 v90, v90, v107
	v_add_f16_e32 v91, v22, v91
	v_sub_f16_e32 v84, v114, v84
	v_add_f16_e32 v88, v9, v88
	v_fmac_f16_e32 v53, 0x3b15, v12
	v_fmac_f16_e32 v124, 0xbb7b, v61
	v_add_f16_e32 v67, v67, v68
	v_sub_f16_e32 v66, v99, v66
	v_add_f16_e32 v68, v72, v71
	v_fmamk_f16 v71, v48, 0xb5ac, v64
	v_mul_f16_e32 v61, 0xb94e, v61
	v_add_f16_e32 v13, v34, v13
	v_add_f16_e32 v12, v28, v27
	;; [unrolled: 1-line block ×3, first 2 shown]
	v_fma_f16 v27, v36, 0x388b, -v59
	v_mul_f16_e32 v103, 0x3b15, v45
	v_add_f16_e32 v98, v98, v100
	v_mul_f16_e32 v100, 0x3b15, v48
	v_add_f16_e32 v90, v90, v91
	v_add_f16_e32 v87, v87, v113
	;; [unrolled: 1-line block ×3, first 2 shown]
	v_sub_f16_e32 v81, v102, v81
	v_add_f16_e32 v9, v9, v53
	v_fmac_f16_e32 v54, 0x388b, v14
	v_add_f16_e32 v66, v66, v67
	v_add_f16_e32 v67, v71, v68
	v_fmamk_f16 v46, v51, 0xb9fd, v61
	v_add_f16_e32 v11, v13, v11
	v_add_f16_e32 v12, v12, v26
	;; [unrolled: 1-line block ×3, first 2 shown]
	v_fma_f16 v14, v44, 0x2fb7, -v62
	v_mul_f16_e32 v107, 0x388b, v49
	v_add_f16_e32 v93, v93, v95
	v_mul_f16_e32 v95, 0x388b, v51
	v_add_f16_e32 v87, v87, v90
	v_add_f16_e32 v85, v85, v100
	;; [unrolled: 1-line block ×3, first 2 shown]
	v_sub_f16_e32 v79, v103, v79
	v_add_f16_e32 v9, v54, v9
	v_fmac_f16_e32 v55, 0x2fb7, v41
	v_add_f16_e32 v33, v46, v67
	v_mul_f16_e32 v46, 0xb3a8, v65
	v_mul_f16_e32 v40, 0xb3a8, v60
	v_add_f16_e32 v10, v11, v10
	v_add_f16_e32 v11, v12, v25
	;; [unrolled: 1-line block ×3, first 2 shown]
	v_fma_f16 v13, v48, 0xb5ac, -v64
	v_lshrrev_b32_e32 v14, 1, v0
	v_mul_f16_e32 v91, 0x3b15, v63
	v_mul_f16_e32 v121, 0xb9fd, v52
	;; [unrolled: 1-line block ×3, first 2 shown]
	v_add_f16_e32 v85, v85, v87
	v_add_f16_e32 v83, v83, v95
	;; [unrolled: 1-line block ×3, first 2 shown]
	v_sub_f16_e32 v80, v107, v80
	v_add_f16_e32 v9, v55, v9
	v_fmac_f16_e32 v43, 0xb5ac, v45
	v_mul_f16_e32 v114, 0x388b, v52
	v_fmamk_f16 v39, v63, 0xbbc4, v46
	v_fma_f16 v31, v52, 0xbbc4, -v40
	v_add_f16_e32 v11, v11, v24
	v_add_f16_e32 v12, v13, v12
	v_mul_u32_u24_e32 v13, 26, v14
	v_add_f16_e32 v83, v83, v85
	v_add_f16_e32 v82, v82, v113
	;; [unrolled: 1-line block ×3, first 2 shown]
	v_sub_f16_e32 v78, v121, v78
	v_add_f16_e32 v70, v70, v91
	v_fma_f16 v14, v51, 0xb9fd, -v61
	v_add_f16_e32 v9, v43, v9
	v_fmac_f16_e32 v32, 0xb9fd, v49
	v_add_f16_e32 v92, v92, v93
	v_sub_f16_e32 v86, v114, v86
	v_add_f16_e32 v33, v39, v33
	v_add_f16_e32 v30, v31, v30
	;; [unrolled: 1-line block ×3, first 2 shown]
	v_or_b32_e32 v3, v13, v3
	v_add_f16_e32 v118, v122, v118
	v_fmamk_f16 v122, v52, 0x2fb7, v125
	v_add_f16_e32 v115, v124, v115
	v_fmac_f16_e32 v126, 0x3bf1, v65
	v_add_f16_e32 v81, v82, v83
	v_add_f16_e32 v73, v78, v77
	;; [unrolled: 1-line block ×4, first 2 shown]
	v_fma_f16 v13, v63, 0xbbc4, -v46
	v_add_f16_e32 v9, v32, v9
	v_fmac_f16_e32 v40, 0xbbc4, v52
	v_add_f16_e32 v90, v97, v98
	v_lshl_add_u32 v3, v3, 2, 0
	v_pack_b32_f16 v10, v10, v11
	v_pack_b32_f16 v11, v30, v33
	v_add_f16_e32 v23, v86, v92
	v_add_f16_e32 v118, v122, v118
	;; [unrolled: 1-line block ×3, first 2 shown]
	v_pack_b32_f16 v14, v66, v69
	v_pack_b32_f16 v22, v73, v81
	v_add_f16_e32 v12, v13, v12
	v_add_f16_e32 v9, v40, v9
	ds_store_2addr_b32 v3, v10, v11 offset1:2
	ds_store_2addr_b32 v3, v14, v22 offset0:4 offset1:6
	v_pack_b32_f16 v10, v23, v90
	v_pack_b32_f16 v11, v109, v104
	;; [unrolled: 1-line block ×5, first 2 shown]
	v_perm_b32 v23, v16, v15, 0x5040100
	v_perm_b32 v24, v20, v19, 0x5040100
	;; [unrolled: 1-line block ×3, first 2 shown]
	v_pack_b32_f16 v9, v9, v12
	ds_store_2addr_b32 v3, v10, v11 offset0:8 offset1:10
	ds_store_2addr_b32 v3, v13, v14 offset0:12 offset1:14
	;; [unrolled: 1-line block ×4, first 2 shown]
	ds_store_b32 v3, v9 offset:96
.LBB0_17:
	s_wait_alu 0xfffe
	s_or_b32 exec_lo, exec_lo, s1
	v_add_nc_u32_e32 v3, 0x400, v21
	v_add_nc_u32_e32 v9, 0x900, v21
	;; [unrolled: 1-line block ×3, first 2 shown]
	v_lshl_add_u32 v24, v2, 2, 0
	v_lshl_add_u32 v23, v8, 2, 0
	global_wb scope:SCOPE_SE
	s_wait_dscnt 0x0
	s_barrier_signal -1
	s_barrier_wait -1
	global_inv scope:SCOPE_SE
	ds_load_2addr_b32 v[11:12], v3 offset0:134 offset1:251
	ds_load_2addr_b32 v[13:14], v9 offset0:48 offset1:204
	;; [unrolled: 1-line block ×3, first 2 shown]
	ds_load_b32 v30, v21
	ds_load_b32 v29, v24
	;; [unrolled: 1-line block ×3, first 2 shown]
	v_cmp_gt_u32_e64 s0, 39, v0
	v_lshl_add_u32 v22, v7, 2, 0
	s_delay_alu instid0(VALU_DEP_2)
	s_and_saveexec_b32 s1, s0
	s_cbranch_execz .LBB0_19
; %bb.18:
	ds_load_b32 v15, v22
	ds_load_b32 v17, v21 offset:4524
	ds_load_b32 v19, v21 offset:2964
	s_wait_dscnt 0x2
	v_lshrrev_b32_e32 v16, 16, v15
	s_wait_dscnt 0x1
	v_lshrrev_b32_e32 v18, 16, v17
	;; [unrolled: 2-line block ×3, first 2 shown]
.LBB0_19:
	s_wait_alu 0xfffe
	s_or_b32 exec_lo, exec_lo, s1
	v_and_b32_e32 v3, 0xff, v0
	v_and_b32_e32 v26, 0xff, v2
	;; [unrolled: 1-line block ×4, first 2 shown]
	s_wait_dscnt 0x5
	v_lshrrev_b32_e32 v46, 16, v11
	v_mul_lo_u16 v3, 0x4f, v3
	v_mul_lo_u16 v26, 0x4f, v26
	v_mul_u32_u24_e32 v27, 0x4ec5, v27
	v_mul_u32_u24_e32 v28, 0x4ec5, v28
	s_wait_dscnt 0x4
	v_lshrrev_b32_e32 v47, 16, v14
	v_lshrrev_b16 v3, 11, v3
	v_lshrrev_b16 v33, 11, v26
	v_lshrrev_b32_e32 v34, 19, v27
	v_lshrrev_b32_e32 v31, 19, v28
	;; [unrolled: 1-line block ×3, first 2 shown]
	v_mul_lo_u16 v26, v3, 26
	v_mul_lo_u16 v27, v33, 26
	;; [unrolled: 1-line block ×4, first 2 shown]
	v_and_b32_e32 v3, 0xffff, v3
	v_sub_nc_u16 v26, v0, v26
	v_sub_nc_u16 v27, v2, v27
	;; [unrolled: 1-line block ×3, first 2 shown]
	v_and_b32_e32 v33, 0xffff, v33
	v_mul_u32_u24_e32 v34, 0x138, v34
	v_and_b32_e32 v41, 0xff, v26
	v_sub_nc_u16 v26, v7, v32
	v_and_b32_e32 v42, 0xff, v27
	v_and_b32_e32 v28, 0xffff, v28
	v_mul_u32_u24_e32 v3, 0x138, v3
	v_lshlrev_b32_e32 v27, 3, v41
	v_and_b32_e32 v32, 0xffff, v26
	v_lshlrev_b32_e32 v35, 3, v42
	v_lshlrev_b32_e32 v37, 3, v28
	;; [unrolled: 1-line block ×3, first 2 shown]
	global_load_b64 v[26:27], v27, s[4:5] offset:96
	v_lshlrev_b32_e32 v39, 3, v32
	v_lshlrev_b32_e32 v28, 2, v28
	s_clause 0x2
	global_load_b64 v[35:36], v35, s[4:5] offset:96
	global_load_b64 v[37:38], v37, s[4:5] offset:96
	;; [unrolled: 1-line block ×3, first 2 shown]
	v_mul_u32_u24_e32 v33, 0x138, v33
	v_lshlrev_b32_e32 v42, 2, v42
	v_add3_u32 v41, 0, v3, v41
	v_add3_u32 v52, 0, v34, v28
	s_wait_dscnt 0x3
	v_lshrrev_b32_e32 v49, 16, v9
	v_lshrrev_b32_e32 v50, 16, v13
	v_add3_u32 v42, 0, v33, v42
	v_lshrrev_b32_e32 v51, 16, v10
	s_wait_dscnt 0x2
	v_lshrrev_b32_e32 v43, 16, v30
	s_wait_dscnt 0x1
	v_lshrrev_b32_e32 v44, 16, v29
	s_wait_dscnt 0x0
	v_lshrrev_b32_e32 v45, 16, v25
	global_wb scope:SCOPE_SE
	s_wait_loadcnt 0x0
	s_barrier_signal -1
	s_barrier_wait -1
	global_inv scope:SCOPE_SE
	v_lshrrev_b32_e32 v3, 16, v26
	v_lshrrev_b32_e32 v28, 16, v27
	;; [unrolled: 1-line block ×8, first 2 shown]
	v_mul_f16_e32 v57, v3, v46
	v_mul_f16_e32 v3, v3, v11
	;; [unrolled: 1-line block ×16, first 2 shown]
	v_fma_f16 v11, v26, v11, -v57
	v_fmac_f16_e32 v3, v26, v46
	v_fma_f16 v14, v27, v14, -v58
	v_fmac_f16_e32 v28, v27, v47
	;; [unrolled: 2-line block ×8, first 2 shown]
	v_add_f16_e32 v18, v11, v14
	v_sub_f16_e32 v19, v3, v28
	v_add_f16_e32 v20, v43, v3
	v_add_f16_e32 v3, v3, v28
	;; [unrolled: 1-line block ×7, first 2 shown]
	v_sub_f16_e32 v11, v11, v14
	v_add_f16_e32 v35, v29, v12
	v_add_f16_e32 v38, v44, v60
	v_sub_f16_e32 v47, v53, v54
	v_add_f16_e32 v48, v45, v53
	v_add_f16_e32 v50, v10, v9
	;; [unrolled: 1-line block ×3, first 2 shown]
	v_fmac_f16_e32 v30, -0.5, v18
	v_fmac_f16_e32 v43, -0.5, v3
	v_sub_f16_e32 v37, v60, v62
	v_sub_f16_e32 v12, v12, v26
	v_fmac_f16_e32 v29, -0.5, v36
	v_fmac_f16_e32 v44, -0.5, v39
	v_add_f16_e32 v40, v25, v13
	v_sub_f16_e32 v13, v13, v27
	v_fmac_f16_e32 v25, -0.5, v46
	v_fmac_f16_e32 v45, -0.5, v49
	v_sub_f16_e32 v51, v34, v33
	v_sub_f16_e32 v55, v10, v9
	v_add_f16_e32 v14, v17, v14
	v_add_f16_e32 v17, v20, v28
	v_add_f16_e32 v18, v35, v26
	v_add_f16_e32 v20, v38, v62
	v_fma_f16 v3, -0.5, v50, v15
	v_fma_f16 v26, -0.5, v53, v16
	v_fmamk_f16 v38, v19, 0x3aee, v30
	v_fmac_f16_e32 v30, 0xbaee, v19
	v_fmamk_f16 v19, v11, 0xbaee, v43
	v_fmac_f16_e32 v43, 0x3aee, v11
	;; [unrolled: 2-line block ×4, first 2 shown]
	v_add_f16_e32 v35, v40, v27
	v_add_f16_e32 v36, v48, v54
	v_fmamk_f16 v12, v47, 0x3aee, v25
	v_fmamk_f16 v39, v13, 0xbaee, v45
	v_fmac_f16_e32 v25, 0xbaee, v47
	v_fmac_f16_e32 v45, 0x3aee, v13
	v_fmamk_f16 v27, v51, 0x3aee, v3
	v_fmac_f16_e32 v3, 0xbaee, v51
	v_fmamk_f16 v28, v55, 0xbaee, v26
	v_fmac_f16_e32 v26, 0x3aee, v55
	v_pack_b32_f16 v13, v14, v17
	v_pack_b32_f16 v14, v18, v20
	v_pack_b32_f16 v18, v38, v19
	v_pack_b32_f16 v19, v30, v43
	v_pack_b32_f16 v11, v11, v37
	v_pack_b32_f16 v20, v29, v44
	v_pack_b32_f16 v17, v35, v36
	v_pack_b32_f16 v12, v12, v39
	v_pack_b32_f16 v25, v25, v45
	ds_store_2addr_b32 v41, v13, v18 offset1:26
	ds_store_b32 v41, v19 offset:208
	ds_store_2addr_b32 v42, v14, v11 offset1:26
	ds_store_b32 v42, v20 offset:208
	;; [unrolled: 2-line block ×3, first 2 shown]
	s_and_saveexec_b32 s1, s0
	s_cbranch_execz .LBB0_21
; %bb.20:
	v_mul_lo_u16 v11, 0x4e, v31
	v_add_f16_e32 v12, v16, v34
	v_add_f16_e32 v10, v15, v10
	v_lshlrev_b32_e32 v13, 2, v32
	s_delay_alu instid0(VALU_DEP_4) | instskip(NEXT) | instid1(VALU_DEP_4)
	v_and_b32_e32 v11, 0xffff, v11
	v_add_f16_e32 v12, v12, v33
	s_delay_alu instid0(VALU_DEP_4) | instskip(NEXT) | instid1(VALU_DEP_3)
	v_add_f16_e32 v9, v10, v9
	v_lshlrev_b32_e32 v10, 2, v11
	v_perm_b32 v11, v28, v27, 0x5040100
	s_delay_alu instid0(VALU_DEP_3) | instskip(SKIP_1) | instid1(VALU_DEP_4)
	v_pack_b32_f16 v9, v9, v12
	v_perm_b32 v12, v26, v3, 0x5040100
	v_add3_u32 v10, 0, v13, v10
	ds_store_2addr_b32 v10, v9, v11 offset1:26
	ds_store_b32 v10, v12 offset:208
.LBB0_21:
	s_wait_alu 0xfffe
	s_or_b32 exec_lo, exec_lo, s1
	v_lshrrev_b16 v11, 1, v2
	v_dual_mov_b32 v10, 0 :: v_dual_add_nc_u32 v9, 0xffffffb2, v0
	v_cmp_gt_u32_e64 s1, 0x4e, v0
	global_wb scope:SCOPE_SE
	s_wait_dscnt 0x0
	v_and_b32_e32 v13, 0x7f, v11
	s_barrier_signal -1
	s_barrier_wait -1
	s_wait_alu 0xf1ff
	v_cndmask_b32_e64 v9, v9, v0, s1
	global_inv scope:SCOPE_SE
	v_mul_lo_u16 v13, 0xd3, v13
	v_lshl_add_u32 v25, v6, 2, 0
	v_add_nc_u32_e32 v19, 0x540, v21
	v_lshlrev_b32_e32 v9, 2, v9
	v_add_nc_u32_e32 v29, 0xa00, v21
	v_lshrrev_b16 v33, 13, v13
	v_add_nc_u32_e32 v31, 0xe00, v21
	ds_load_b32 v35, v21
	v_lshlrev_b64_e32 v[11:12], 2, v[9:10]
	v_add_nc_u32_e32 v40, 0x400, v21
	v_mul_lo_u16 v15, 0x4e, v33
	v_and_b32_e32 v33, 0xffff, v33
	v_add_nc_u32_e32 v41, 0x900, v21
	v_add_nc_u32_e32 v42, 0xc00, v21
	v_add_co_u32 v11, s1, s4, v11
	s_wait_alu 0xf1ff
	v_add_co_ci_u32_e64 v12, s1, s5, v12, s1
	v_sub_nc_u16 v15, v2, v15
	v_mul_u32_u24_e32 v33, 0x618, v33
	v_cmp_lt_u32_e64 s1, 0x4d, v0
	global_load_b128 v[11:14], v[11:12], off offset:304
	v_and_b32_e32 v34, 0xff, v15
	s_wait_alu 0xf1ff
	v_cndmask_b32_e64 v39, 0, 0x618, s1
	s_delay_alu instid0(VALU_DEP_2) | instskip(SKIP_1) | instid1(VALU_DEP_3)
	v_lshlrev_b32_e32 v15, 4, v34
	v_lshlrev_b32_e32 v34, 2, v34
	v_add3_u32 v9, 0, v39, v9
	s_wait_dscnt 0x0
	v_lshrrev_b32_e32 v39, 16, v35
	global_load_b128 v[15:18], v15, s[4:5] offset:304
	ds_load_b32 v36, v23
	ds_load_b32 v37, v25
	;; [unrolled: 1-line block ×3, first 2 shown]
	ds_load_2addr_b32 v[19:20], v19 offset0:15 offset1:249
	ds_load_2addr_b32 v[29:30], v29 offset0:62 offset1:179
	;; [unrolled: 1-line block ×3, first 2 shown]
	v_add3_u32 v33, 0, v33, v34
	global_wb scope:SCOPE_SE
	s_wait_loadcnt_dscnt 0x0
	s_barrier_signal -1
	s_barrier_wait -1
	global_inv scope:SCOPE_SE
	v_lshrrev_b32_e32 v43, 16, v36
	v_lshrrev_b32_e32 v48, 16, v37
	;; [unrolled: 1-line block ×13, first 2 shown]
	s_delay_alu instid0(VALU_DEP_4)
	v_mul_f16_e32 v55, v52, v43
	v_mul_f16_e32 v52, v52, v36
	;; [unrolled: 1-line block ×8, first 2 shown]
	v_fma_f16 v36, v11, v36, -v55
	v_fmac_f16_e32 v52, v11, v43
	v_fma_f16 v11, v12, v37, -v56
	v_fmac_f16_e32 v34, v12, v48
	;; [unrolled: 2-line block ×4, first 2 shown]
	v_lshrrev_b32_e32 v14, 16, v15
	v_lshrrev_b32_e32 v29, 16, v16
	;; [unrolled: 1-line block ×4, first 2 shown]
	v_add_f16_e32 v43, v35, v36
	v_add_f16_e32 v60, v39, v52
	v_mul_f16_e32 v67, v14, v51
	v_mul_f16_e32 v14, v14, v19
	;; [unrolled: 1-line block ×7, first 2 shown]
	v_add_f16_e32 v48, v11, v12
	v_mul_f16_e32 v37, v32, v37
	v_sub_f16_e32 v49, v52, v54
	v_sub_f16_e32 v50, v34, v53
	;; [unrolled: 1-line block ×5, first 2 shown]
	v_add_f16_e32 v61, v34, v53
	v_sub_f16_e32 v62, v11, v12
	v_sub_f16_e32 v63, v52, v34
	v_add_f16_e32 v65, v52, v54
	v_sub_f16_e32 v52, v34, v52
	v_add_f16_e32 v11, v43, v11
	v_add_f16_e32 v34, v60, v34
	v_fma_f16 v19, v15, v19, -v67
	v_fmac_f16_e32 v14, v15, v51
	v_fma_f16 v15, v20, v16, -v68
	v_fmac_f16_e32 v69, v45, v16
	;; [unrolled: 2-line block ×3, first 2 shown]
	v_fma_f16 v17, v32, v18, -v70
	v_sub_f16_e32 v66, v53, v54
	v_fma_f16 v43, -0.5, v48, v35
	v_fmac_f16_e32 v37, v47, v18
	v_add_f16_e32 v57, v36, v13
	v_sub_f16_e32 v59, v12, v13
	v_sub_f16_e32 v36, v36, v13
	;; [unrolled: 1-line block ×3, first 2 shown]
	v_add_f16_e32 v48, v55, v56
	v_fma_f16 v56, -0.5, v61, v39
	v_add_f16_e32 v11, v11, v12
	v_add_f16_e32 v20, v34, v53
	;; [unrolled: 1-line block ×4, first 2 shown]
	v_sub_f16_e32 v47, v19, v15
	v_sub_f16_e32 v51, v17, v16
	v_add_f16_e32 v60, v44, v14
	v_add_f16_e32 v61, v69, v31
	;; [unrolled: 1-line block ×3, first 2 shown]
	v_fmamk_f16 v12, v49, 0x3b9c, v43
	v_fmac_f16_e32 v43, 0xbb9c, v49
	v_add_f16_e32 v53, v19, v17
	v_add_f16_e32 v66, v14, v37
	v_fmac_f16_e32 v35, -0.5, v57
	v_fmac_f16_e32 v39, -0.5, v65
	v_add_f16_e32 v55, v58, v59
	v_add_f16_e32 v57, v63, v64
	v_fmamk_f16 v32, v36, 0xbb9c, v56
	v_sub_f16_e32 v45, v14, v37
	v_sub_f16_e32 v58, v15, v19
	;; [unrolled: 1-line block ×4, first 2 shown]
	v_add_f16_e32 v11, v11, v13
	v_add_f16_e32 v13, v20, v54
	;; [unrolled: 1-line block ×3, first 2 shown]
	v_fma_f16 v29, -0.5, v30, v38
	v_add_f16_e32 v20, v47, v51
	v_add_f16_e32 v47, v60, v69
	v_fma_f16 v30, -0.5, v61, v44
	v_sub_f16_e32 v46, v69, v31
	v_fmac_f16_e32 v12, 0x38b4, v50
	v_fmac_f16_e32 v43, 0xb8b4, v50
	v_fmac_f16_e32 v38, -0.5, v53
	v_fmac_f16_e32 v44, -0.5, v66
	v_fmamk_f16 v18, v50, 0xbb9c, v35
	v_fmac_f16_e32 v35, 0x3b9c, v50
	v_fmamk_f16 v34, v62, 0x3b9c, v39
	v_fmac_f16_e32 v39, 0xbb9c, v62
	v_fmac_f16_e32 v56, 0x3b9c, v36
	v_sub_f16_e32 v64, v14, v69
	v_sub_f16_e32 v65, v37, v31
	v_sub_f16_e32 v67, v31, v37
	v_fmac_f16_e32 v32, 0xb8b4, v62
	v_pack_b32_f16 v11, v11, v13
	v_add_f16_e32 v13, v15, v16
	v_fmamk_f16 v15, v45, 0x3b9c, v29
	v_add_f16_e32 v31, v47, v31
	v_fmamk_f16 v47, v19, 0xbb9c, v30
	v_sub_f16_e32 v59, v16, v17
	v_sub_f16_e32 v14, v69, v14
	v_fmac_f16_e32 v12, 0x34f2, v48
	v_fmac_f16_e32 v43, 0x34f2, v48
	v_fmamk_f16 v16, v46, 0xbb9c, v38
	v_fmac_f16_e32 v38, 0x3b9c, v46
	v_fmamk_f16 v48, v63, 0x3b9c, v44
	v_fmac_f16_e32 v44, 0xbb9c, v63
	v_fmac_f16_e32 v29, 0xbb9c, v45
	;; [unrolled: 1-line block ×8, first 2 shown]
	v_add_f16_e32 v49, v64, v65
	v_fmac_f16_e32 v32, 0x34f2, v57
	v_fmac_f16_e32 v15, 0x38b4, v46
	;; [unrolled: 1-line block ×3, first 2 shown]
	v_add_f16_e32 v36, v58, v59
	v_add_f16_e32 v14, v14, v67
	v_fmac_f16_e32 v16, 0x38b4, v45
	v_fmac_f16_e32 v38, 0xb8b4, v45
	;; [unrolled: 1-line block ×11, first 2 shown]
	v_pack_b32_f16 v12, v12, v32
	v_add_f16_e32 v13, v13, v17
	v_add_f16_e32 v17, v31, v37
	v_fmac_f16_e32 v15, 0x34f2, v20
	v_fmac_f16_e32 v47, 0x34f2, v49
	v_fmac_f16_e32 v16, 0x34f2, v36
	v_fmac_f16_e32 v38, 0x34f2, v36
	v_fmac_f16_e32 v48, 0x34f2, v14
	v_fmac_f16_e32 v44, 0x34f2, v14
	v_fmac_f16_e32 v29, 0x34f2, v20
	v_fmac_f16_e32 v30, 0x34f2, v49
	v_pack_b32_f16 v18, v18, v34
	v_pack_b32_f16 v32, v35, v39
	v_pack_b32_f16 v34, v43, v56
	ds_store_2addr_b32 v9, v11, v12 offset1:78
	v_pack_b32_f16 v11, v13, v17
	v_pack_b32_f16 v12, v15, v47
	;; [unrolled: 1-line block ×5, first 2 shown]
	ds_store_2addr_b32 v9, v18, v32 offset0:156 offset1:234
	ds_store_b32 v9, v34 offset:1248
	ds_store_2addr_b32 v33, v11, v12 offset1:78
	ds_store_2addr_b32 v33, v13, v14 offset0:156 offset1:234
	ds_store_b32 v33, v15 offset:1248
	global_wb scope:SCOPE_SE
	s_wait_dscnt 0x0
	s_barrier_signal -1
	s_barrier_wait -1
	global_inv scope:SCOPE_SE
	ds_load_2addr_b32 v[15:16], v40 offset0:134 offset1:251
	ds_load_2addr_b32 v[13:14], v41 offset0:48 offset1:204
	;; [unrolled: 1-line block ×3, first 2 shown]
	ds_load_b32 v33, v21
	ds_load_b32 v32, v24
	ds_load_b32 v31, v23
	v_lshlrev_b32_e32 v19, 1, v2
	v_lshlrev_b32_e32 v17, 1, v8
	s_and_saveexec_b32 s1, s0
	s_cbranch_execz .LBB0_23
; %bb.22:
	ds_load_b32 v29, v22
	ds_load_b32 v3, v21 offset:4524
	ds_load_b32 v27, v21 offset:2964
	s_wait_dscnt 0x2
	v_lshrrev_b32_e32 v30, 16, v29
	s_wait_dscnt 0x1
	v_lshrrev_b32_e32 v26, 16, v3
	;; [unrolled: 2-line block ×3, first 2 shown]
.LBB0_23:
	s_wait_alu 0xfffe
	s_or_b32 exec_lo, exec_lo, s1
	v_dual_mov_b32 v20, v10 :: v_dual_lshlrev_b32 v9, 1, v0
	v_mov_b32_e32 v18, v10
	s_wait_dscnt 0x4
	v_lshrrev_b32_e32 v41, 16, v14
	v_lshrrev_b32_e32 v42, 16, v15
	v_lshlrev_b64_e32 v[9:10], 2, v[9:10]
	v_lshlrev_b64_e32 v[19:20], 2, v[19:20]
	v_lshlrev_b64_e32 v[17:18], 2, v[17:18]
	s_wait_dscnt 0x3
	v_lshrrev_b32_e32 v39, 16, v11
	v_lshrrev_b32_e32 v40, 16, v16
	;; [unrolled: 1-line block ×3, first 2 shown]
	v_add_co_u32 v9, s1, s4, v9
	s_wait_alu 0xf1ff
	v_add_co_ci_u32_e64 v10, s1, s5, v10, s1
	v_add_co_u32 v19, s1, s4, v19
	s_wait_alu 0xf1ff
	v_add_co_ci_u32_e64 v20, s1, s5, v20, s1
	;; [unrolled: 3-line block ×3, first 2 shown]
	s_clause 0x2
	global_load_b64 v[9:10], v[9:10], off offset:1552
	global_load_b64 v[19:20], v[19:20], off offset:1552
	;; [unrolled: 1-line block ×3, first 2 shown]
	v_lshrrev_b32_e32 v38, 16, v13
	s_wait_dscnt 0x2
	v_lshrrev_b32_e32 v34, 16, v33
	s_wait_dscnt 0x1
	;; [unrolled: 2-line block ×3, first 2 shown]
	v_lshrrev_b32_e32 v36, 16, v31
	global_wb scope:SCOPE_SE
	s_wait_loadcnt 0x0
	s_barrier_signal -1
	s_barrier_wait -1
	global_inv scope:SCOPE_SE
	v_lshrrev_b32_e32 v43, 16, v9
	v_lshrrev_b32_e32 v44, 16, v10
	;; [unrolled: 1-line block ×6, first 2 shown]
	v_mul_f16_e32 v49, v43, v42
	v_mul_f16_e32 v43, v43, v15
	;; [unrolled: 1-line block ×12, first 2 shown]
	v_fma_f16 v15, v9, v15, -v49
	v_fmac_f16_e32 v43, v9, v42
	v_fma_f16 v9, v10, v14, -v50
	v_fmac_f16_e32 v44, v10, v41
	v_fma_f16 v10, v19, v16, -v51
	v_fmac_f16_e32 v45, v19, v40
	v_fma_f16 v11, v20, v11, -v52
	v_fmac_f16_e32 v46, v20, v39
	v_fma_f16 v13, v17, v13, -v53
	v_fmac_f16_e32 v47, v17, v38
	v_fma_f16 v12, v18, v12, -v54
	v_fmac_f16_e32 v48, v18, v37
	v_add_f16_e32 v16, v15, v9
	v_add_f16_e32 v19, v43, v44
	;; [unrolled: 1-line block ×5, first 2 shown]
	v_sub_f16_e32 v17, v43, v44
	v_add_f16_e32 v18, v34, v43
	v_sub_f16_e32 v38, v45, v46
	v_add_f16_e32 v39, v35, v45
	v_add_f16_e32 v42, v13, v12
	v_sub_f16_e32 v43, v47, v48
	v_add_f16_e32 v45, v36, v47
	v_add_f16_e32 v47, v47, v48
	v_sub_f16_e32 v15, v15, v9
	v_fmac_f16_e32 v33, -0.5, v16
	v_fmac_f16_e32 v34, -0.5, v19
	v_add_f16_e32 v20, v32, v10
	v_sub_f16_e32 v10, v10, v11
	v_fmac_f16_e32 v32, -0.5, v37
	v_fmac_f16_e32 v35, -0.5, v40
	v_add_f16_e32 v41, v31, v13
	v_sub_f16_e32 v13, v13, v12
	v_add_f16_e32 v9, v14, v9
	v_add_f16_e32 v14, v18, v44
	v_fmac_f16_e32 v31, -0.5, v42
	v_fmac_f16_e32 v36, -0.5, v47
	v_fmamk_f16 v19, v17, 0x3aee, v33
	v_fmac_f16_e32 v33, 0xbaee, v17
	v_fmamk_f16 v17, v15, 0xbaee, v34
	v_fmac_f16_e32 v34, 0x3aee, v15
	v_add_f16_e32 v11, v20, v11
	v_add_f16_e32 v16, v39, v46
	v_fmamk_f16 v15, v38, 0x3aee, v32
	v_fmamk_f16 v20, v10, 0xbaee, v35
	v_add_f16_e32 v12, v41, v12
	v_add_f16_e32 v18, v45, v48
	v_fmac_f16_e32 v32, 0xbaee, v38
	v_fmac_f16_e32 v35, 0x3aee, v10
	v_fmamk_f16 v10, v43, 0x3aee, v31
	v_fmac_f16_e32 v31, 0xbaee, v43
	v_fmamk_f16 v37, v13, 0xbaee, v36
	v_fmac_f16_e32 v36, 0x3aee, v13
	v_pack_b32_f16 v9, v9, v14
	v_pack_b32_f16 v13, v19, v17
	;; [unrolled: 1-line block ×9, first 2 shown]
	ds_store_b32 v21, v9
	ds_store_b32 v21, v13 offset:1560
	ds_store_b32 v21, v14 offset:3120
	ds_store_b32 v24, v11
	ds_store_b32 v24, v15 offset:1560
	ds_store_b32 v24, v16 offset:3120
	;; [unrolled: 3-line block ×3, first 2 shown]
	s_and_saveexec_b32 s1, s0
	s_cbranch_execz .LBB0_25
; %bb.24:
	v_subrev_nc_u32_e32 v9, 39, v0
	s_delay_alu instid0(VALU_DEP_1) | instskip(NEXT) | instid1(VALU_DEP_1)
	v_cndmask_b32_e64 v9, v9, v7, s0
	v_dual_mov_b32 v10, 0 :: v_dual_lshlrev_b32 v9, 1, v9
	s_delay_alu instid0(VALU_DEP_1) | instskip(NEXT) | instid1(VALU_DEP_1)
	v_lshlrev_b64_e32 v[9:10], 2, v[9:10]
	v_add_co_u32 v9, s0, s4, v9
	s_wait_alu 0xf1ff
	s_delay_alu instid0(VALU_DEP_2) | instskip(SKIP_4) | instid1(VALU_DEP_2)
	v_add_co_ci_u32_e64 v10, s0, s5, v10, s0
	global_load_b64 v[9:10], v[9:10], off offset:1552
	s_wait_loadcnt 0x0
	v_lshrrev_b32_e32 v11, 16, v10
	v_lshrrev_b32_e32 v12, 16, v9
	v_mul_f16_e32 v13, v3, v11
	s_delay_alu instid0(VALU_DEP_2) | instskip(SKIP_2) | instid1(VALU_DEP_4)
	v_mul_f16_e32 v14, v27, v12
	v_mul_f16_e32 v12, v28, v12
	;; [unrolled: 1-line block ×3, first 2 shown]
	v_fmac_f16_e32 v13, v26, v10
	s_delay_alu instid0(VALU_DEP_4) | instskip(NEXT) | instid1(VALU_DEP_4)
	v_fmac_f16_e32 v14, v28, v9
	v_fma_f16 v9, v27, v9, -v12
	s_delay_alu instid0(VALU_DEP_4) | instskip(NEXT) | instid1(VALU_DEP_3)
	v_fma_f16 v3, v3, v10, -v11
	v_add_f16_e32 v10, v14, v13
	v_add_f16_e32 v11, v30, v14
	s_delay_alu instid0(VALU_DEP_3)
	v_add_f16_e32 v12, v9, v3
	v_add_f16_e32 v15, v29, v9
	v_sub_f16_e32 v9, v9, v3
	v_fmac_f16_e32 v30, -0.5, v10
	v_sub_f16_e32 v10, v14, v13
	v_fmac_f16_e32 v29, -0.5, v12
	v_add_f16_e32 v11, v11, v13
	v_add_f16_e32 v3, v15, v3
	v_fmamk_f16 v12, v9, 0x3aee, v30
	v_fmac_f16_e32 v30, 0xbaee, v9
	v_fmamk_f16 v9, v10, 0xbaee, v29
	v_fmac_f16_e32 v29, 0x3aee, v10
	v_pack_b32_f16 v3, v3, v11
	s_delay_alu instid0(VALU_DEP_3) | instskip(NEXT) | instid1(VALU_DEP_3)
	v_pack_b32_f16 v9, v9, v12
	v_pack_b32_f16 v10, v29, v30
	ds_store_b32 v21, v3 offset:1404
	ds_store_b32 v21, v10 offset:2964
	;; [unrolled: 1-line block ×3, first 2 shown]
.LBB0_25:
	s_wait_alu 0xfffe
	s_or_b32 exec_lo, exec_lo, s1
	global_wb scope:SCOPE_SE
	s_wait_dscnt 0x0
	s_barrier_signal -1
	s_barrier_wait -1
	global_inv scope:SCOPE_SE
	ds_load_b32 v3, v21
	v_sub_nc_u32_e32 v10, 0, v1
	s_mov_b32 s1, exec_lo
                                        ; implicit-def: $vgpr12
                                        ; implicit-def: $vgpr11
                                        ; implicit-def: $vgpr1
	v_cmpx_ne_u32_e32 0, v0
	s_wait_alu 0xfffe
	s_xor_b32 s1, exec_lo, s1
	s_cbranch_execz .LBB0_27
; %bb.26:
	v_mov_b32_e32 v1, 0
	ds_load_b32 v9, v10 offset:4680
	v_lshlrev_b64_e32 v[11:12], 2, v[0:1]
	s_delay_alu instid0(VALU_DEP_1) | instskip(SKIP_1) | instid1(VALU_DEP_2)
	v_add_co_u32 v11, s0, s4, v11
	s_wait_alu 0xf1ff
	v_add_co_ci_u32_e64 v12, s0, s5, v12, s0
	global_load_b32 v1, v[11:12], off offset:4672
	s_wait_dscnt 0x0
	v_pk_add_f16 v11, v3, v9 neg_lo:[0,1] neg_hi:[0,1]
	v_pk_add_f16 v3, v9, v3
	s_delay_alu instid0(VALU_DEP_1) | instskip(SKIP_1) | instid1(VALU_DEP_2)
	v_bfi_b32 v9, 0xffff, v11, v3
	v_bfi_b32 v3, 0xffff, v3, v11
	v_pk_mul_f16 v9, v9, 0.5 op_sel_hi:[1,0]
	s_delay_alu instid0(VALU_DEP_2) | instskip(SKIP_1) | instid1(VALU_DEP_2)
	v_pk_mul_f16 v12, v3, 0.5 op_sel_hi:[1,0]
	s_wait_loadcnt 0x0
	v_pk_mul_f16 v11, v1, v9 op_sel:[1,0]
	v_pk_mul_f16 v1, v1, v9 op_sel_hi:[0,1]
	s_delay_alu instid0(VALU_DEP_3) | instskip(NEXT) | instid1(VALU_DEP_3)
	v_lshrrev_b32_e32 v9, 16, v12
	v_pk_fma_f16 v3, v3, 0.5, v11 op_sel_hi:[1,0,1]
	v_lshrrev_b32_e32 v13, 16, v11
	v_sub_f16_e32 v11, v12, v11
	v_lshrrev_b32_e32 v12, 16, v1
	s_delay_alu instid0(VALU_DEP_4) | instskip(SKIP_2) | instid1(VALU_DEP_4)
	v_pk_add_f16 v14, v3, v1 op_sel:[0,1] op_sel_hi:[1,0]
	v_pk_add_f16 v3, v3, v1 op_sel:[0,1] op_sel_hi:[1,0] neg_lo:[0,1] neg_hi:[0,1]
	v_sub_f16_e32 v9, v13, v9
	v_sub_f16_e32 v11, v11, v12
	s_delay_alu instid0(VALU_DEP_3) | instskip(NEXT) | instid1(VALU_DEP_3)
	v_bfi_b32 v12, 0xffff, v14, v3
	v_sub_f16_e32 v1, v9, v1
                                        ; implicit-def: $vgpr3
.LBB0_27:
	s_wait_alu 0xfffe
	s_and_not1_saveexec_b32 s0, s1
	s_cbranch_execz .LBB0_29
; %bb.28:
	v_mov_b32_e32 v1, 0
	s_wait_dscnt 0x0
	s_wait_alu 0xfffe
	v_alignbit_b32 v11, s0, v3, 16
	v_lshrrev_b32_e32 v12, 16, v3
	ds_load_u16 v9, v1 offset:2342
	v_pk_add_f16 v13, v11, v3
	v_sub_f16_e32 v11, v3, v12
	s_delay_alu instid0(VALU_DEP_2)
	v_pack_b32_f16 v12, v13, 0
	s_wait_dscnt 0x0
	v_xor_b32_e32 v3, 0x8000, v9
	ds_store_b16 v1, v3 offset:2342
.LBB0_29:
	s_wait_alu 0xfffe
	s_or_b32 exec_lo, exec_lo, s0
	s_wait_dscnt 0x0
	v_mov_b32_e32 v3, 0
	s_delay_alu instid0(VALU_DEP_1) | instskip(SKIP_1) | instid1(VALU_DEP_1)
	v_lshlrev_b64_e32 v[13:14], 2, v[2:3]
	v_mov_b32_e32 v9, v3
	v_lshlrev_b64_e32 v[8:9], 2, v[8:9]
	s_delay_alu instid0(VALU_DEP_3) | instskip(SKIP_1) | instid1(VALU_DEP_4)
	v_add_co_u32 v13, s0, s4, v13
	s_wait_alu 0xf1ff
	v_add_co_ci_u32_e64 v14, s0, s5, v14, s0
	s_delay_alu instid0(VALU_DEP_3)
	v_add_co_u32 v8, s0, s4, v8
	global_load_b32 v2, v[13:14], off offset:4672
	s_wait_alu 0xf1ff
	v_add_co_ci_u32_e64 v9, s0, s5, v9, s0
	global_load_b32 v9, v[8:9], off offset:4672
	v_mov_b32_e32 v8, v3
	s_delay_alu instid0(VALU_DEP_1) | instskip(NEXT) | instid1(VALU_DEP_1)
	v_lshlrev_b64_e32 v[7:8], 2, v[7:8]
	v_add_co_u32 v7, s0, s4, v7
	s_wait_alu 0xf1ff
	s_delay_alu instid0(VALU_DEP_2) | instskip(SKIP_2) | instid1(VALU_DEP_1)
	v_add_co_ci_u32_e64 v8, s0, s5, v8, s0
	global_load_b32 v8, v[7:8], off offset:4672
	v_mov_b32_e32 v7, v3
	v_lshlrev_b64_e32 v[6:7], 2, v[6:7]
	s_delay_alu instid0(VALU_DEP_1) | instskip(SKIP_1) | instid1(VALU_DEP_2)
	v_add_co_u32 v6, s0, s4, v6
	s_wait_alu 0xf1ff
	v_add_co_ci_u32_e64 v7, s0, s5, v7, s0
	global_load_b32 v6, v[6:7], off offset:4672
	ds_store_b16 v10, v1 offset:4682
	ds_store_b32 v21, v12
	ds_store_b16 v10, v11 offset:4680
	ds_load_b32 v1, v24
	ds_load_b32 v7, v10 offset:4212
	s_wait_dscnt 0x0
	v_pk_add_f16 v11, v1, v7 neg_lo:[0,1] neg_hi:[0,1]
	v_pk_add_f16 v1, v1, v7
	s_delay_alu instid0(VALU_DEP_1) | instskip(SKIP_1) | instid1(VALU_DEP_2)
	v_bfi_b32 v7, 0xffff, v11, v1
	v_bfi_b32 v1, 0xffff, v1, v11
	v_pk_mul_f16 v7, v7, 0.5 op_sel_hi:[1,0]
	s_delay_alu instid0(VALU_DEP_2) | instskip(SKIP_1) | instid1(VALU_DEP_1)
	v_pk_mul_f16 v1, v1, 0.5 op_sel_hi:[1,0]
	s_wait_loadcnt 0x3
	v_pk_fma_f16 v11, v2, v7, v1 op_sel:[1,0,0]
	v_pk_mul_f16 v12, v2, v7 op_sel_hi:[0,1]
	v_pk_fma_f16 v13, v2, v7, v1 op_sel:[1,0,0] neg_lo:[1,0,0] neg_hi:[1,0,0]
	v_pk_fma_f16 v1, v2, v7, v1 op_sel:[1,0,0] neg_lo:[0,0,1] neg_hi:[0,0,1]
	s_delay_alu instid0(VALU_DEP_3) | instskip(SKIP_1) | instid1(VALU_DEP_4)
	v_pk_add_f16 v2, v11, v12 op_sel:[0,1] op_sel_hi:[1,0]
	v_pk_add_f16 v7, v11, v12 op_sel:[0,1] op_sel_hi:[1,0] neg_lo:[0,1] neg_hi:[0,1]
	v_pk_add_f16 v11, v13, v12 op_sel:[0,1] op_sel_hi:[1,0] neg_lo:[0,1] neg_hi:[0,1]
	s_delay_alu instid0(VALU_DEP_4) | instskip(NEXT) | instid1(VALU_DEP_3)
	v_pk_add_f16 v1, v1, v12 op_sel:[0,1] op_sel_hi:[1,0] neg_lo:[0,1] neg_hi:[0,1]
	v_bfi_b32 v2, 0xffff, v2, v7
	s_delay_alu instid0(VALU_DEP_2)
	v_bfi_b32 v1, 0xffff, v11, v1
	ds_store_b32 v24, v2
	ds_store_b32 v10, v1 offset:4212
	ds_load_b32 v1, v23
	ds_load_b32 v2, v10 offset:3744
	s_wait_dscnt 0x0
	v_pk_add_f16 v7, v1, v2 neg_lo:[0,1] neg_hi:[0,1]
	v_pk_add_f16 v1, v1, v2
	s_delay_alu instid0(VALU_DEP_1) | instskip(SKIP_1) | instid1(VALU_DEP_2)
	v_bfi_b32 v2, 0xffff, v7, v1
	v_bfi_b32 v1, 0xffff, v1, v7
	v_pk_mul_f16 v2, v2, 0.5 op_sel_hi:[1,0]
	s_delay_alu instid0(VALU_DEP_2) | instskip(SKIP_1) | instid1(VALU_DEP_2)
	v_pk_mul_f16 v1, v1, 0.5 op_sel_hi:[1,0]
	s_wait_loadcnt 0x2
	v_pk_mul_f16 v11, v9, v2 op_sel_hi:[0,1]
	s_delay_alu instid0(VALU_DEP_2) | instskip(SKIP_2) | instid1(VALU_DEP_3)
	v_pk_fma_f16 v7, v9, v2, v1 op_sel:[1,0,0]
	v_pk_fma_f16 v12, v9, v2, v1 op_sel:[1,0,0] neg_lo:[1,0,0] neg_hi:[1,0,0]
	v_pk_fma_f16 v1, v9, v2, v1 op_sel:[1,0,0] neg_lo:[0,0,1] neg_hi:[0,0,1]
	v_pk_add_f16 v2, v7, v11 op_sel:[0,1] op_sel_hi:[1,0]
	v_pk_add_f16 v7, v7, v11 op_sel:[0,1] op_sel_hi:[1,0] neg_lo:[0,1] neg_hi:[0,1]
	s_delay_alu instid0(VALU_DEP_4) | instskip(NEXT) | instid1(VALU_DEP_4)
	v_pk_add_f16 v9, v12, v11 op_sel:[0,1] op_sel_hi:[1,0] neg_lo:[0,1] neg_hi:[0,1]
	v_pk_add_f16 v1, v1, v11 op_sel:[0,1] op_sel_hi:[1,0] neg_lo:[0,1] neg_hi:[0,1]
	s_delay_alu instid0(VALU_DEP_3) | instskip(NEXT) | instid1(VALU_DEP_2)
	v_bfi_b32 v2, 0xffff, v2, v7
	v_bfi_b32 v1, 0xffff, v9, v1
	ds_store_b32 v23, v2
	ds_store_b32 v10, v1 offset:3744
	ds_load_b32 v1, v22
	ds_load_b32 v2, v10 offset:3276
	s_wait_dscnt 0x0
	v_pk_add_f16 v7, v1, v2 neg_lo:[0,1] neg_hi:[0,1]
	v_pk_add_f16 v1, v1, v2
	s_delay_alu instid0(VALU_DEP_1) | instskip(SKIP_1) | instid1(VALU_DEP_2)
	v_bfi_b32 v2, 0xffff, v7, v1
	v_bfi_b32 v1, 0xffff, v1, v7
	v_pk_mul_f16 v2, v2, 0.5 op_sel_hi:[1,0]
	s_delay_alu instid0(VALU_DEP_2) | instskip(SKIP_1) | instid1(VALU_DEP_2)
	v_pk_mul_f16 v1, v1, 0.5 op_sel_hi:[1,0]
	s_wait_loadcnt 0x1
	v_pk_mul_f16 v9, v8, v2 op_sel_hi:[0,1]
	s_delay_alu instid0(VALU_DEP_2) | instskip(SKIP_2) | instid1(VALU_DEP_3)
	v_pk_fma_f16 v7, v8, v2, v1 op_sel:[1,0,0]
	v_pk_fma_f16 v11, v8, v2, v1 op_sel:[1,0,0] neg_lo:[1,0,0] neg_hi:[1,0,0]
	v_pk_fma_f16 v1, v8, v2, v1 op_sel:[1,0,0] neg_lo:[0,0,1] neg_hi:[0,0,1]
	v_pk_add_f16 v2, v7, v9 op_sel:[0,1] op_sel_hi:[1,0]
	v_pk_add_f16 v7, v7, v9 op_sel:[0,1] op_sel_hi:[1,0] neg_lo:[0,1] neg_hi:[0,1]
	s_delay_alu instid0(VALU_DEP_4) | instskip(NEXT) | instid1(VALU_DEP_4)
	v_pk_add_f16 v8, v11, v9 op_sel:[0,1] op_sel_hi:[1,0] neg_lo:[0,1] neg_hi:[0,1]
	v_pk_add_f16 v1, v1, v9 op_sel:[0,1] op_sel_hi:[1,0] neg_lo:[0,1] neg_hi:[0,1]
	s_delay_alu instid0(VALU_DEP_3) | instskip(NEXT) | instid1(VALU_DEP_2)
	v_bfi_b32 v2, 0xffff, v2, v7
	;; [unrolled: 27-line block ×3, first 2 shown]
	v_bfi_b32 v1, 0xffff, v7, v1
	ds_store_b32 v25, v2
	ds_store_b32 v10, v1 offset:2808
	global_wb scope:SCOPE_SE
	s_wait_dscnt 0x0
	s_barrier_signal -1
	s_barrier_wait -1
	global_inv scope:SCOPE_SE
	s_and_saveexec_b32 s0, vcc_lo
	s_cbranch_execz .LBB0_32
; %bb.30:
	v_dual_mov_b32 v1, v3 :: v_dual_add_nc_u32 v2, 0x200, v21
	v_add_nc_u32_e32 v3, 0x600, v21
	v_add_nc_u32_e32 v14, 0xa00, v21
	;; [unrolled: 1-line block ×3, first 2 shown]
	ds_load_2addr_b32 v[6:7], v21 offset1:117
	ds_load_2addr_b32 v[8:9], v2 offset0:106 offset1:223
	ds_load_2addr_b32 v[12:13], v3 offset0:84 offset1:201
	ds_load_2addr_b32 v[14:15], v14 offset0:62 offset1:179
	ds_load_2addr_b32 v[16:17], v16 offset0:40 offset1:157
	v_lshlrev_b64_e32 v[10:11], 2, v[0:1]
	v_add_co_u32 v1, vcc_lo, s8, v4
	s_wait_alu 0xfffd
	v_add_co_ci_u32_e32 v2, vcc_lo, s9, v5, vcc_lo
	s_delay_alu instid0(VALU_DEP_2) | instskip(SKIP_1) | instid1(VALU_DEP_2)
	v_add_co_u32 v3, vcc_lo, v1, v10
	s_wait_alu 0xfffd
	v_add_co_ci_u32_e32 v4, vcc_lo, v2, v11, vcc_lo
	v_cmp_eq_u32_e32 vcc_lo, 0x74, v0
	s_wait_dscnt 0x4
	s_clause 0x1
	global_store_b32 v[3:4], v6, off
	global_store_b32 v[3:4], v7, off offset:468
	s_wait_dscnt 0x3
	s_clause 0x1
	global_store_b32 v[3:4], v8, off offset:936
	global_store_b32 v[3:4], v9, off offset:1404
	s_wait_dscnt 0x2
	s_clause 0x1
	global_store_b32 v[3:4], v12, off offset:1872
	;; [unrolled: 4-line block ×4, first 2 shown]
	global_store_b32 v[3:4], v17, off offset:4212
	s_and_b32 exec_lo, exec_lo, vcc_lo
	s_cbranch_execz .LBB0_32
; %bb.31:
	v_mov_b32_e32 v0, 0
	ds_load_b32 v0, v0 offset:4680
	s_wait_dscnt 0x0
	global_store_b32 v[1:2], v0, off offset:4680
.LBB0_32:
	s_nop 0
	s_sendmsg sendmsg(MSG_DEALLOC_VGPRS)
	s_endpgm
	.section	.rodata,"a",@progbits
	.p2align	6, 0x0
	.amdhsa_kernel fft_rtc_fwd_len1170_factors_2_13_3_5_3_wgs_117_tpt_117_half_ip_CI_unitstride_sbrr_R2C_dirReg
		.amdhsa_group_segment_fixed_size 0
		.amdhsa_private_segment_fixed_size 0
		.amdhsa_kernarg_size 88
		.amdhsa_user_sgpr_count 2
		.amdhsa_user_sgpr_dispatch_ptr 0
		.amdhsa_user_sgpr_queue_ptr 0
		.amdhsa_user_sgpr_kernarg_segment_ptr 1
		.amdhsa_user_sgpr_dispatch_id 0
		.amdhsa_user_sgpr_private_segment_size 0
		.amdhsa_wavefront_size32 1
		.amdhsa_uses_dynamic_stack 0
		.amdhsa_enable_private_segment 0
		.amdhsa_system_sgpr_workgroup_id_x 1
		.amdhsa_system_sgpr_workgroup_id_y 0
		.amdhsa_system_sgpr_workgroup_id_z 0
		.amdhsa_system_sgpr_workgroup_info 0
		.amdhsa_system_vgpr_workitem_id 0
		.amdhsa_next_free_vgpr 132
		.amdhsa_next_free_sgpr 32
		.amdhsa_reserve_vcc 1
		.amdhsa_float_round_mode_32 0
		.amdhsa_float_round_mode_16_64 0
		.amdhsa_float_denorm_mode_32 3
		.amdhsa_float_denorm_mode_16_64 3
		.amdhsa_fp16_overflow 0
		.amdhsa_workgroup_processor_mode 1
		.amdhsa_memory_ordered 1
		.amdhsa_forward_progress 0
		.amdhsa_round_robin_scheduling 0
		.amdhsa_exception_fp_ieee_invalid_op 0
		.amdhsa_exception_fp_denorm_src 0
		.amdhsa_exception_fp_ieee_div_zero 0
		.amdhsa_exception_fp_ieee_overflow 0
		.amdhsa_exception_fp_ieee_underflow 0
		.amdhsa_exception_fp_ieee_inexact 0
		.amdhsa_exception_int_div_zero 0
	.end_amdhsa_kernel
	.text
.Lfunc_end0:
	.size	fft_rtc_fwd_len1170_factors_2_13_3_5_3_wgs_117_tpt_117_half_ip_CI_unitstride_sbrr_R2C_dirReg, .Lfunc_end0-fft_rtc_fwd_len1170_factors_2_13_3_5_3_wgs_117_tpt_117_half_ip_CI_unitstride_sbrr_R2C_dirReg
                                        ; -- End function
	.section	.AMDGPU.csdata,"",@progbits
; Kernel info:
; codeLenInByte = 11392
; NumSgprs: 34
; NumVgprs: 132
; ScratchSize: 0
; MemoryBound: 0
; FloatMode: 240
; IeeeMode: 1
; LDSByteSize: 0 bytes/workgroup (compile time only)
; SGPRBlocks: 4
; VGPRBlocks: 16
; NumSGPRsForWavesPerEU: 34
; NumVGPRsForWavesPerEU: 132
; Occupancy: 10
; WaveLimiterHint : 1
; COMPUTE_PGM_RSRC2:SCRATCH_EN: 0
; COMPUTE_PGM_RSRC2:USER_SGPR: 2
; COMPUTE_PGM_RSRC2:TRAP_HANDLER: 0
; COMPUTE_PGM_RSRC2:TGID_X_EN: 1
; COMPUTE_PGM_RSRC2:TGID_Y_EN: 0
; COMPUTE_PGM_RSRC2:TGID_Z_EN: 0
; COMPUTE_PGM_RSRC2:TIDIG_COMP_CNT: 0
	.text
	.p2alignl 7, 3214868480
	.fill 96, 4, 3214868480
	.type	__hip_cuid_bd2d1466ffcec4f3,@object ; @__hip_cuid_bd2d1466ffcec4f3
	.section	.bss,"aw",@nobits
	.globl	__hip_cuid_bd2d1466ffcec4f3
__hip_cuid_bd2d1466ffcec4f3:
	.byte	0                               ; 0x0
	.size	__hip_cuid_bd2d1466ffcec4f3, 1

	.ident	"AMD clang version 19.0.0git (https://github.com/RadeonOpenCompute/llvm-project roc-6.4.0 25133 c7fe45cf4b819c5991fe208aaa96edf142730f1d)"
	.section	".note.GNU-stack","",@progbits
	.addrsig
	.addrsig_sym __hip_cuid_bd2d1466ffcec4f3
	.amdgpu_metadata
---
amdhsa.kernels:
  - .args:
      - .actual_access:  read_only
        .address_space:  global
        .offset:         0
        .size:           8
        .value_kind:     global_buffer
      - .offset:         8
        .size:           8
        .value_kind:     by_value
      - .actual_access:  read_only
        .address_space:  global
        .offset:         16
        .size:           8
        .value_kind:     global_buffer
      - .actual_access:  read_only
        .address_space:  global
        .offset:         24
        .size:           8
        .value_kind:     global_buffer
      - .offset:         32
        .size:           8
        .value_kind:     by_value
      - .actual_access:  read_only
        .address_space:  global
        .offset:         40
        .size:           8
        .value_kind:     global_buffer
      - .actual_access:  read_only
        .address_space:  global
        .offset:         48
        .size:           8
        .value_kind:     global_buffer
      - .offset:         56
        .size:           4
        .value_kind:     by_value
      - .actual_access:  read_only
        .address_space:  global
        .offset:         64
        .size:           8
        .value_kind:     global_buffer
      - .actual_access:  read_only
        .address_space:  global
        .offset:         72
        .size:           8
        .value_kind:     global_buffer
      - .address_space:  global
        .offset:         80
        .size:           8
        .value_kind:     global_buffer
    .group_segment_fixed_size: 0
    .kernarg_segment_align: 8
    .kernarg_segment_size: 88
    .language:       OpenCL C
    .language_version:
      - 2
      - 0
    .max_flat_workgroup_size: 117
    .name:           fft_rtc_fwd_len1170_factors_2_13_3_5_3_wgs_117_tpt_117_half_ip_CI_unitstride_sbrr_R2C_dirReg
    .private_segment_fixed_size: 0
    .sgpr_count:     34
    .sgpr_spill_count: 0
    .symbol:         fft_rtc_fwd_len1170_factors_2_13_3_5_3_wgs_117_tpt_117_half_ip_CI_unitstride_sbrr_R2C_dirReg.kd
    .uniform_work_group_size: 1
    .uses_dynamic_stack: false
    .vgpr_count:     132
    .vgpr_spill_count: 0
    .wavefront_size: 32
    .workgroup_processor_mode: 1
amdhsa.target:   amdgcn-amd-amdhsa--gfx1201
amdhsa.version:
  - 1
  - 2
...

	.end_amdgpu_metadata
